;; amdgpu-corpus repo=ROCm/rocFFT kind=compiled arch=gfx906 opt=O3
	.text
	.amdgcn_target "amdgcn-amd-amdhsa--gfx906"
	.amdhsa_code_object_version 6
	.protected	bluestein_single_back_len143_dim1_half_op_CI_CI ; -- Begin function bluestein_single_back_len143_dim1_half_op_CI_CI
	.globl	bluestein_single_back_len143_dim1_half_op_CI_CI
	.p2align	8
	.type	bluestein_single_back_len143_dim1_half_op_CI_CI,@function
bluestein_single_back_len143_dim1_half_op_CI_CI: ; @bluestein_single_back_len143_dim1_half_op_CI_CI
; %bb.0:
	v_mul_u32_u24_e32 v1, 0x13b2, v0
	s_load_dwordx4 s[0:3], s[4:5], 0x28
	v_lshrrev_b32_e32 v1, 16, v1
	v_mad_u64_u32 v[8:9], s[6:7], s6, 14, v[1:2]
	v_mov_b32_e32 v9, 0
	s_waitcnt lgkmcnt(0)
	v_cmp_gt_u64_e32 vcc, s[0:1], v[8:9]
	s_and_saveexec_b64 s[0:1], vcc
	s_cbranch_execz .LBB0_15
; %bb.1:
	v_lshrrev_b32_e32 v2, 1, v8
	s_mov_b32 s0, 0x92492493
	v_mul_hi_u32 v2, v2, s0
	s_load_dwordx2 s[6:7], s[4:5], 0x0
	s_load_dwordx2 s[12:13], s[4:5], 0x38
	v_mul_lo_u16_e32 v1, 13, v1
	v_sub_u16_e32 v24, v0, v1
	v_lshrrev_b32_e32 v2, 2, v2
	v_mul_lo_u32 v2, v2, 14
	v_cmp_gt_u16_e32 vcc, 11, v24
	v_lshlrev_b32_e32 v23, 2, v24
	v_sub_u32_e32 v0, v8, v2
	v_mul_u32_u24_e32 v9, 0x8f, v0
	v_lshlrev_b32_e32 v26, 2, v9
	s_and_saveexec_b64 s[14:15], vcc
	s_cbranch_execz .LBB0_3
; %bb.2:
	s_load_dwordx2 s[0:1], s[4:5], 0x18
	s_waitcnt lgkmcnt(0)
	s_load_dwordx4 s[8:11], s[0:1], 0x0
	s_waitcnt lgkmcnt(0)
	v_mad_u64_u32 v[0:1], s[0:1], s10, v8, 0
	v_mad_u64_u32 v[2:3], s[0:1], s8, v24, 0
	;; [unrolled: 1-line block ×4, first 2 shown]
	v_mov_b32_e32 v1, v4
	v_lshlrev_b64 v[0:1], 2, v[0:1]
	v_mov_b32_e32 v3, v5
	v_mov_b32_e32 v6, s3
	v_lshlrev_b64 v[2:3], 2, v[2:3]
	v_add_co_u32_e64 v0, s[0:1], s2, v0
	v_addc_co_u32_e64 v1, s[0:1], v6, v1, s[0:1]
	v_add_co_u32_e64 v0, s[0:1], v0, v2
	v_addc_co_u32_e64 v1, s[0:1], v1, v3, s[0:1]
	s_mul_i32 s0, s9, 44
	s_mul_hi_u32 s1, s8, 44
	s_mul_i32 s2, s8, 44
	s_add_i32 s3, s1, s0
	global_load_dword v2, v[0:1], off
	global_load_dword v3, v23, s[6:7]
	global_load_dword v4, v23, s[6:7] offset:44
	global_load_dword v5, v23, s[6:7] offset:88
	;; [unrolled: 1-line block ×7, first 2 shown]
	v_mov_b32_e32 v13, s3
	v_add_co_u32_e64 v0, s[0:1], s2, v0
	v_addc_co_u32_e64 v1, s[0:1], v1, v13, s[0:1]
	global_load_dword v13, v[0:1], off
	v_mov_b32_e32 v14, s3
	v_add_co_u32_e64 v0, s[0:1], s2, v0
	v_addc_co_u32_e64 v1, s[0:1], v1, v14, s[0:1]
	global_load_dword v14, v[0:1], off
	;; [unrolled: 4-line block ×4, first 2 shown]
	global_load_dword v17, v23, s[6:7] offset:352
	global_load_dword v18, v23, s[6:7] offset:396
	global_load_dword v19, v23, s[6:7] offset:440
	v_mov_b32_e32 v20, s3
	v_add_co_u32_e64 v0, s[0:1], s2, v0
	v_addc_co_u32_e64 v1, s[0:1], v1, v20, s[0:1]
	global_load_dword v20, v[0:1], off
	v_mov_b32_e32 v21, s3
	v_add_co_u32_e64 v0, s[0:1], s2, v0
	v_addc_co_u32_e64 v1, s[0:1], v1, v21, s[0:1]
	global_load_dword v21, v[0:1], off
	;; [unrolled: 4-line block ×7, first 2 shown]
	global_load_dword v32, v23, s[6:7] offset:484
	v_mov_b32_e32 v33, s3
	v_add_co_u32_e64 v0, s[0:1], s2, v0
	v_addc_co_u32_e64 v1, s[0:1], v1, v33, s[0:1]
	global_load_dword v33, v[0:1], off
	global_load_dword v34, v23, s[6:7] offset:528
	s_waitcnt vmcnt(25)
	v_lshrrev_b32_e32 v30, 16, v2
	s_waitcnt vmcnt(24)
	v_mul_f16_sdwa v31, v3, v30 dst_sel:DWORD dst_unused:UNUSED_PAD src0_sel:WORD_1 src1_sel:DWORD
	v_fma_f16 v0, v3, v2, v31
	v_mul_f16_sdwa v2, v3, v2 dst_sel:DWORD dst_unused:UNUSED_PAD src0_sel:WORD_1 src1_sel:DWORD
	v_fma_f16 v2, v3, v30, -v2
	v_lshl_add_u32 v1, v24, 2, v26
	v_pack_b32_f16 v0, v0, v2
	ds_write_b32 v1, v0
	v_add_u32_e32 v2, v26, v23
	s_waitcnt vmcnt(16)
	v_lshrrev_b32_e32 v0, 16, v13
	v_mul_f16_sdwa v1, v4, v0 dst_sel:DWORD dst_unused:UNUSED_PAD src0_sel:WORD_1 src1_sel:DWORD
	v_mul_f16_sdwa v3, v4, v13 dst_sel:DWORD dst_unused:UNUSED_PAD src0_sel:WORD_1 src1_sel:DWORD
	v_fma_f16 v1, v4, v13, v1
	v_fma_f16 v0, v4, v0, -v3
	v_pack_b32_f16 v0, v1, v0
	s_waitcnt vmcnt(15)
	v_lshrrev_b32_e32 v1, 16, v14
	v_mul_f16_sdwa v3, v5, v1 dst_sel:DWORD dst_unused:UNUSED_PAD src0_sel:WORD_1 src1_sel:DWORD
	v_mul_f16_sdwa v4, v5, v14 dst_sel:DWORD dst_unused:UNUSED_PAD src0_sel:WORD_1 src1_sel:DWORD
	v_fma_f16 v3, v5, v14, v3
	v_fma_f16 v1, v5, v1, -v4
	v_pack_b32_f16 v1, v3, v1
	ds_write2_b32 v2, v0, v1 offset0:11 offset1:22
	s_waitcnt vmcnt(14)
	v_lshrrev_b32_e32 v0, 16, v15
	v_mul_f16_sdwa v1, v6, v0 dst_sel:DWORD dst_unused:UNUSED_PAD src0_sel:WORD_1 src1_sel:DWORD
	v_mul_f16_sdwa v3, v6, v15 dst_sel:DWORD dst_unused:UNUSED_PAD src0_sel:WORD_1 src1_sel:DWORD
	v_fma_f16 v1, v6, v15, v1
	v_fma_f16 v0, v6, v0, -v3
	v_pack_b32_f16 v0, v1, v0
	s_waitcnt vmcnt(13)
	v_lshrrev_b32_e32 v1, 16, v16
	v_mul_f16_sdwa v3, v7, v1 dst_sel:DWORD dst_unused:UNUSED_PAD src0_sel:WORD_1 src1_sel:DWORD
	v_mul_f16_sdwa v4, v7, v16 dst_sel:DWORD dst_unused:UNUSED_PAD src0_sel:WORD_1 src1_sel:DWORD
	v_fma_f16 v3, v7, v16, v3
	v_fma_f16 v1, v7, v1, -v4
	v_pack_b32_f16 v1, v3, v1
	ds_write2_b32 v2, v0, v1 offset0:33 offset1:44
	;; [unrolled: 15-line block ×5, first 2 shown]
	s_waitcnt vmcnt(3)
	v_lshrrev_b32_e32 v0, 16, v29
	s_waitcnt vmcnt(2)
	v_mul_f16_sdwa v1, v32, v0 dst_sel:DWORD dst_unused:UNUSED_PAD src0_sel:WORD_1 src1_sel:DWORD
	v_mul_f16_sdwa v3, v32, v29 dst_sel:DWORD dst_unused:UNUSED_PAD src0_sel:WORD_1 src1_sel:DWORD
	v_fma_f16 v1, v32, v29, v1
	v_fma_f16 v0, v32, v0, -v3
	v_pack_b32_f16 v0, v1, v0
	s_waitcnt vmcnt(1)
	v_lshrrev_b32_e32 v1, 16, v33
	s_waitcnt vmcnt(0)
	v_mul_f16_sdwa v3, v34, v1 dst_sel:DWORD dst_unused:UNUSED_PAD src0_sel:WORD_1 src1_sel:DWORD
	v_mul_f16_sdwa v4, v34, v33 dst_sel:DWORD dst_unused:UNUSED_PAD src0_sel:WORD_1 src1_sel:DWORD
	v_fma_f16 v3, v34, v33, v3
	v_fma_f16 v1, v34, v1, -v4
	v_pack_b32_f16 v1, v3, v1
	ds_write2_b32 v2, v0, v1 offset0:121 offset1:132
.LBB0_3:
	s_or_b64 exec, exec, s[14:15]
	s_load_dwordx2 s[2:3], s[4:5], 0x20
	s_load_dwordx2 s[0:1], s[4:5], 0x8
	s_waitcnt lgkmcnt(0)
	s_barrier
	s_waitcnt lgkmcnt(0)
                                        ; implicit-def: $vgpr0
                                        ; implicit-def: $vgpr3
                                        ; implicit-def: $vgpr16
                                        ; implicit-def: $vgpr11
                                        ; implicit-def: $vgpr25
                                        ; implicit-def: $vgpr31
                                        ; implicit-def: $vgpr13
                                        ; implicit-def: $vgpr32
                                        ; implicit-def: $vgpr33
                                        ; implicit-def: $vgpr15
                                        ; implicit-def: $vgpr34
                                        ; implicit-def: $vgpr20
                                        ; implicit-def: $vgpr7
                                        ; implicit-def: $vgpr17
                                        ; implicit-def: $vgpr18
                                        ; implicit-def: $vgpr5
                                        ; implicit-def: $vgpr19
                                        ; implicit-def: $vgpr21
                                        ; implicit-def: $vgpr22
	s_and_saveexec_b64 s[4:5], vcc
	s_cbranch_execz .LBB0_5
; %bb.4:
	v_lshl_add_u32 v10, v9, 2, v23
	ds_read2_b32 v[0:1], v10 offset1:11
	ds_read2_b32 v[4:5], v10 offset0:22 offset1:33
	ds_read2_b32 v[6:7], v10 offset0:44 offset1:55
	ds_read2_b32 v[2:3], v10 offset0:66 offset1:77
	ds_read2_b32 v[11:12], v10 offset0:88 offset1:99
	ds_read2_b32 v[13:14], v10 offset0:110 offset1:121
	ds_read_b32 v15, v10 offset:528
	s_waitcnt lgkmcnt(6)
	v_lshrrev_b32_e32 v22, 16, v1
	s_waitcnt lgkmcnt(5)
	v_lshrrev_b32_e32 v21, 16, v4
	v_lshrrev_b32_e32 v19, 16, v5
	s_waitcnt lgkmcnt(4)
	v_lshrrev_b32_e32 v18, 16, v6
	;; [unrolled: 3-line block ×6, first 2 shown]
.LBB0_5:
	s_or_b64 exec, exec, s[4:5]
	v_sub_f16_e32 v56, v22, v34
	v_add_f16_e32 v35, v15, v1
	s_movk_i32 s8, 0x3b15
	v_mul_f16_e32 v46, 0xb770, v56
	v_sub_f16_e32 v59, v21, v33
	v_sub_f16_e32 v60, v1, v15
	v_fma_f16 v10, v35, s8, v46
	s_movk_i32 s9, 0x388b
	v_add_f16_e32 v37, v14, v4
	v_mul_f16_e32 v47, 0xba95, v59
	v_add_f16_e32 v36, v34, v22
	v_add_f16_e32 v10, v10, v0
	v_fma_f16 v27, v37, s9, v47
	v_mul_f16_e32 v49, 0xb770, v60
	v_sub_f16_e32 v68, v4, v14
	v_add_f16_e32 v10, v27, v10
	v_fma_f16 v27, v36, s8, -v49
	v_add_f16_e32 v38, v33, v21
	v_mul_f16_e32 v50, 0xba95, v68
	v_add_f16_sdwa v27, v27, v0 dst_sel:DWORD dst_unused:UNUSED_PAD src0_sel:DWORD src1_sel:WORD_1
	v_fma_f16 v28, v38, s9, -v50
	v_mul_f16_e32 v53, 0xba95, v56
	v_add_f16_e32 v27, v28, v27
	v_fma_f16 v28, v35, s9, v53
	s_mov_b32 s10, 0xb5ac
	v_mul_f16_e32 v54, 0xbb7b, v59
	v_add_f16_e32 v28, v28, v0
	v_fma_f16 v29, v37, s10, v54
	v_mul_f16_e32 v62, 0xba95, v60
	v_add_f16_e32 v28, v29, v28
	v_fma_f16 v29, v36, s9, -v62
	v_mul_f16_e32 v63, 0xbb7b, v68
	v_sub_f16_e32 v69, v19, v32
	v_add_f16_sdwa v29, v29, v0 dst_sel:DWORD dst_unused:UNUSED_PAD src0_sel:DWORD src1_sel:WORD_1
	v_fma_f16 v30, v38, s10, -v63
	s_movk_i32 s11, 0x2fb7
	v_add_f16_e32 v39, v13, v5
	v_mul_f16_e32 v51, 0xbbf1, v69
	v_sub_f16_e32 v74, v5, v13
	v_add_f16_e32 v29, v30, v29
	v_fma_f16 v30, v39, s11, v51
	v_add_f16_e32 v41, v32, v19
	v_mul_f16_e32 v55, 0xbbf1, v74
	v_add_f16_e32 v10, v30, v10
	v_fma_f16 v30, v41, s11, -v55
	s_mov_b32 s14, 0xbbc4
	v_mul_f16_e32 v61, 0xb3a8, v69
	v_add_f16_e32 v27, v30, v27
	v_fma_f16 v30, v39, s14, v61
	v_mul_f16_e32 v67, 0xb3a8, v74
	v_sub_f16_e32 v73, v18, v31
	v_add_f16_e32 v28, v30, v28
	v_fma_f16 v30, v41, s14, -v67
	v_add_f16_e32 v40, v12, v6
	v_mul_f16_e32 v52, 0xbb7b, v73
	v_sub_f16_e32 v78, v6, v12
	v_add_f16_e32 v29, v30, v29
	v_fma_f16 v30, v40, s10, v52
	v_add_f16_e32 v43, v31, v18
	v_mul_f16_e32 v58, 0xbb7b, v78
	v_add_f16_e32 v10, v30, v10
	v_fma_f16 v30, v43, s10, -v58
	s_mov_b32 s15, 0xb9fd
	v_mul_f16_e32 v66, 0x394e, v73
	v_add_f16_e32 v27, v30, v27
	v_fma_f16 v30, v40, s15, v66
	v_mul_f16_e32 v72, 0x394e, v78
	v_sub_f16_e32 v77, v17, v25
	v_add_f16_e32 v28, v30, v28
	v_fma_f16 v30, v43, s15, -v72
	v_add_f16_e32 v42, v11, v7
	v_mul_f16_e32 v57, 0xb94e, v77
	v_sub_f16_e32 v81, v7, v11
	v_add_f16_e32 v29, v30, v29
	v_fma_f16 v30, v42, s15, v57
	v_add_f16_e32 v45, v25, v17
	v_mul_f16_e32 v65, 0xb94e, v81
	v_add_f16_e32 v10, v30, v10
	v_fma_f16 v30, v45, s15, -v65
	v_mul_f16_e32 v71, 0x3bf1, v77
	v_add_f16_e32 v27, v30, v27
	v_fma_f16 v30, v42, s11, v71
	v_mul_f16_e32 v75, 0x3bf1, v81
	v_sub_f16_e32 v80, v20, v16
	v_add_f16_e32 v83, v30, v28
	v_fma_f16 v28, v45, s11, -v75
	v_add_f16_e32 v44, v3, v2
	v_mul_f16_e32 v64, 0xb3a8, v80
	v_sub_f16_e32 v82, v2, v3
	v_add_f16_e32 v30, v28, v29
	v_fma_f16 v28, v44, s14, v64
	v_add_f16_e32 v48, v16, v20
	v_mul_f16_e32 v70, 0xb3a8, v82
	v_add_f16_e32 v28, v28, v10
	v_fma_f16 v10, v48, s14, -v70
	v_mul_f16_e32 v79, 0x3770, v82
	v_add_f16_e32 v29, v10, v27
	v_fma_f16 v10, v48, s8, -v79
	v_mul_f16_e32 v76, 0x3770, v80
	v_add_f16_e32 v30, v10, v30
	v_fma_f16 v10, v44, s8, v76
	v_add_f16_e32 v10, v10, v83
	v_mul_lo_u16_e32 v27, 13, v24
	s_barrier
	s_and_saveexec_b64 s[4:5], vcc
	s_cbranch_execz .LBB0_7
; %bb.6:
	v_mul_f16_e32 v83, 0xb3a8, v60
	v_fma_f16 v84, v36, s14, v83
	v_mul_f16_e32 v85, 0x3770, v68
	v_add_f16_sdwa v84, v84, v0 dst_sel:DWORD dst_unused:UNUSED_PAD src0_sel:DWORD src1_sel:WORD_1
	v_fma_f16 v86, v38, s8, v85
	v_add_f16_e32 v84, v86, v84
	v_mul_f16_e32 v86, 0xb94e, v74
	v_fma_f16 v87, v41, s15, v86
	v_add_f16_e32 v84, v87, v84
	v_mul_f16_e32 v87, 0x3a95, v78
	;; [unrolled: 3-line block ×5, first 2 shown]
	v_fma_f16 v91, v35, s14, -v90
	v_mul_f16_e32 v92, 0x3770, v59
	v_add_f16_e32 v91, v91, v0
	v_fma_f16 v93, v37, s8, -v92
	v_add_f16_e32 v91, v93, v91
	v_mul_f16_e32 v93, 0xb94e, v69
	v_fma_f16 v94, v39, s15, -v93
	v_add_f16_e32 v91, v94, v91
	v_mul_f16_e32 v94, 0x3a95, v73
	;; [unrolled: 3-line block ×5, first 2 shown]
	v_fma_f16 v98, v36, s15, v97
	v_mul_f16_e32 v99, 0x3bf1, v68
	v_add_f16_sdwa v98, v98, v0 dst_sel:DWORD dst_unused:UNUSED_PAD src0_sel:DWORD src1_sel:WORD_1
	v_fma_f16 v100, v38, s11, v99
	v_add_f16_e32 v98, v100, v98
	v_mul_f16_e32 v100, 0xba95, v74
	v_fma_f16 v101, v41, s9, v100
	v_add_f16_e32 v98, v101, v98
	v_mul_f16_e32 v101, 0x33a8, v78
	;; [unrolled: 3-line block ×5, first 2 shown]
	v_fma_f16 v105, v35, s15, -v104
	v_mul_f16_e32 v106, 0x3bf1, v59
	v_add_f16_e32 v105, v105, v0
	v_fma_f16 v107, v37, s11, -v106
	v_add_f16_e32 v105, v107, v105
	v_mul_f16_e32 v107, 0xba95, v69
	v_fma_f16 v108, v39, s9, -v107
	v_add_f16_e32 v105, v108, v105
	v_mul_f16_e32 v108, 0x33a8, v73
	;; [unrolled: 3-line block ×5, first 2 shown]
	v_fma_f16 v112, v36, s10, v111
	v_mul_f16_e32 v113, 0x394e, v68
	v_add_f16_sdwa v112, v112, v0 dst_sel:DWORD dst_unused:UNUSED_PAD src0_sel:DWORD src1_sel:WORD_1
	v_fma_f16 v114, v38, s15, v113
	v_add_f16_e32 v112, v114, v112
	v_mul_f16_e32 v114, 0x3770, v74
	v_fma_f16 v115, v41, s8, v114
	v_add_f16_e32 v112, v115, v112
	v_mul_f16_e32 v115, 0xbbf1, v78
	;; [unrolled: 3-line block ×5, first 2 shown]
	v_fma_f16 v119, v35, s10, -v118
	v_mul_f16_e32 v120, 0x394e, v59
	v_add_f16_e32 v119, v119, v0
	v_fma_f16 v121, v37, s15, -v120
	v_add_f16_e32 v119, v121, v119
	v_mul_f16_e32 v121, 0x3770, v69
	v_fma_f16 v122, v39, s8, -v121
	v_add_f16_e32 v119, v122, v119
	v_mul_f16_e32 v122, 0xbbf1, v73
	;; [unrolled: 3-line block ×4, first 2 shown]
	v_fma_f16 v125, v44, s9, -v124
	v_mul_f16_e32 v60, 0xbbf1, v60
	v_add_f16_e32 v119, v125, v119
	v_fma_f16 v125, v36, s11, v60
	v_mul_f16_e32 v68, 0xb3a8, v68
	v_add_f16_sdwa v125, v125, v0 dst_sel:DWORD dst_unused:UNUSED_PAD src0_sel:DWORD src1_sel:WORD_1
	v_fma_f16 v126, v38, s14, v68
	v_mul_f16_e32 v74, 0x3b7b, v74
	v_add_f16_e32 v125, v126, v125
	v_fma_f16 v126, v41, s10, v74
	v_mul_f16_e32 v78, 0x3770, v78
	v_add_f16_e32 v125, v126, v125
	;; [unrolled: 3-line block ×5, first 2 shown]
	v_fma_f16 v126, v35, s11, -v56
	v_mul_f16_e32 v59, 0xb3a8, v59
	v_add_f16_e32 v126, v126, v0
	v_fma_f16 v127, v37, s14, -v59
	v_mul_f16_e32 v69, 0x3b7b, v69
	v_add_f16_e32 v126, v127, v126
	;; [unrolled: 3-line block ×5, first 2 shown]
	v_fma_f16 v127, v44, s15, -v80
	v_add_f16_e32 v126, v127, v126
	v_mul_f16_e32 v127, 0x388b, v36
	v_add_f16_e32 v62, v62, v127
	v_mul_f16_e32 v127, 0xb5ac, v38
	v_add_f16_e32 v63, v63, v127
	v_add_f16_sdwa v62, v62, v0 dst_sel:DWORD dst_unused:UNUSED_PAD src0_sel:DWORD src1_sel:WORD_1
	v_add_f16_e32 v62, v63, v62
	v_mul_f16_e32 v63, 0xbbc4, v41
	v_add_f16_e32 v63, v67, v63
	v_add_f16_e32 v62, v63, v62
	v_mul_f16_e32 v63, 0xb9fd, v43
	v_add_f16_e32 v63, v72, v63
	;; [unrolled: 3-line block ×4, first 2 shown]
	v_add_f16_e32 v62, v63, v62
	v_mul_f16_e32 v63, 0x388b, v35
	v_sub_f16_e32 v53, v63, v53
	v_mul_f16_e32 v63, 0xb5ac, v37
	v_sub_f16_e32 v54, v63, v54
	v_add_f16_e32 v53, v53, v0
	v_add_f16_e32 v53, v54, v53
	v_mul_f16_e32 v54, 0xbbc4, v39
	v_sub_f16_e32 v54, v54, v61
	v_add_f16_e32 v53, v54, v53
	v_mul_f16_e32 v54, 0xb9fd, v40
	v_sub_f16_e32 v54, v54, v66
	;; [unrolled: 3-line block ×4, first 2 shown]
	v_add_f16_e32 v53, v54, v53
	v_mul_f16_e32 v54, 0x3b15, v36
	v_add_f16_e32 v49, v49, v54
	v_mul_f16_e32 v54, 0x388b, v38
	v_add_f16_e32 v50, v50, v54
	v_add_f16_sdwa v49, v49, v0 dst_sel:DWORD dst_unused:UNUSED_PAD src0_sel:DWORD src1_sel:WORD_1
	v_add_f16_e32 v49, v50, v49
	v_mul_f16_e32 v50, 0x2fb7, v41
	v_add_f16_e32 v50, v55, v50
	v_add_f16_e32 v49, v50, v49
	v_mul_f16_e32 v50, 0xb5ac, v43
	v_add_f16_e32 v50, v58, v50
	;; [unrolled: 3-line block ×4, first 2 shown]
	v_add_f16_e32 v49, v50, v49
	v_mul_f16_e32 v50, 0x3b15, v35
	v_sub_f16_e32 v46, v50, v46
	v_mul_f16_e32 v50, 0x388b, v37
	v_sub_f16_e32 v47, v50, v47
	v_add_f16_e32 v46, v46, v0
	v_add_f16_e32 v46, v47, v46
	v_mul_f16_e32 v47, 0x2fb7, v39
	v_sub_f16_e32 v47, v47, v51
	v_add_f16_e32 v46, v47, v46
	v_mul_f16_e32 v47, 0xb5ac, v40
	v_sub_f16_e32 v47, v47, v52
	;; [unrolled: 3-line block ×4, first 2 shown]
	v_add_f16_e32 v46, v47, v46
	v_fma_f16 v47, v36, s14, -v83
	v_add_f16_sdwa v47, v47, v0 dst_sel:DWORD dst_unused:UNUSED_PAD src0_sel:DWORD src1_sel:WORD_1
	v_fma_f16 v50, v38, s8, -v85
	v_add_f16_e32 v47, v50, v47
	v_fma_f16 v50, v41, s15, -v86
	v_add_f16_e32 v47, v50, v47
	v_fma_f16 v50, v43, s9, -v87
	v_add_f16_e32 v47, v50, v47
	v_fma_f16 v50, v45, s10, -v88
	v_add_f16_e32 v47, v50, v47
	v_fma_f16 v50, v48, s11, -v89
	v_add_f16_e32 v47, v50, v47
	v_fma_f16 v50, v35, s14, v90
	v_add_f16_e32 v50, v50, v0
	v_fma_f16 v51, v37, s8, v92
	v_add_f16_e32 v50, v51, v50
	;; [unrolled: 2-line block ×6, first 2 shown]
	v_fma_f16 v51, v36, s15, -v97
	v_add_f16_sdwa v51, v51, v0 dst_sel:DWORD dst_unused:UNUSED_PAD src0_sel:DWORD src1_sel:WORD_1
	v_fma_f16 v52, v38, s11, -v99
	v_add_f16_e32 v51, v52, v51
	v_fma_f16 v52, v41, s9, -v100
	v_add_f16_e32 v51, v52, v51
	;; [unrolled: 2-line block ×5, first 2 shown]
	v_fma_f16 v52, v35, s15, v104
	v_add_f16_e32 v52, v52, v0
	v_fma_f16 v54, v37, s11, v106
	v_add_f16_e32 v52, v54, v52
	;; [unrolled: 2-line block ×6, first 2 shown]
	v_fma_f16 v54, v36, s10, -v111
	v_add_f16_sdwa v54, v54, v0 dst_sel:DWORD dst_unused:UNUSED_PAD src0_sel:DWORD src1_sel:WORD_1
	v_fma_f16 v55, v38, s15, -v113
	v_add_f16_e32 v54, v55, v54
	v_fma_f16 v55, v41, s8, -v114
	v_add_f16_e32 v54, v55, v54
	;; [unrolled: 2-line block ×5, first 2 shown]
	v_fma_f16 v55, v35, s10, v118
	v_fma_f16 v36, v36, s11, -v60
	v_fma_f16 v35, v35, s11, v56
	v_add_f16_e32 v55, v55, v0
	v_add_f16_sdwa v36, v36, v0 dst_sel:DWORD dst_unused:UNUSED_PAD src0_sel:DWORD src1_sel:WORD_1
	v_add_f16_e32 v35, v35, v0
	v_add_f16_sdwa v22, v22, v0 dst_sel:DWORD dst_unused:UNUSED_PAD src0_sel:DWORD src1_sel:WORD_1
	v_add_f16_e32 v0, v1, v0
	v_add_f16_e32 v21, v21, v22
	;; [unrolled: 1-line block ×21, first 2 shown]
	v_fma_f16 v57, v37, s15, v120
	v_fma_f16 v38, v38, s14, -v68
	v_fma_f16 v37, v37, s14, v59
	v_add_f16_sdwa v16, v34, v16 dst_sel:WORD_1 dst_unused:UNUSED_PAD src0_sel:DWORD src1_sel:DWORD
	v_add_f16_e32 v0, v15, v0
	v_add_f16_e32 v55, v57, v55
	v_fma_f16 v57, v39, s8, v121
	v_add_f16_e32 v36, v38, v36
	v_fma_f16 v38, v41, s10, -v74
	v_add_f16_e32 v35, v37, v35
	v_fma_f16 v37, v39, s10, v69
	v_or_b32_e32 v0, v16, v0
	v_add_lshl_u32 v1, v9, v27, 2
	v_add_f16_e32 v55, v57, v55
	v_fma_f16 v57, v40, s11, v122
	v_add_f16_e32 v36, v38, v36
	v_fma_f16 v38, v43, s8, -v78
	v_add_f16_e32 v35, v37, v35
	v_fma_f16 v37, v40, s8, v73
	ds_write_b32 v1, v0
	v_pack_b32_f16 v0, v53, v62
	v_pack_b32_f16 v2, v46, v49
	v_add_f16_e32 v55, v57, v55
	v_fma_f16 v57, v42, s14, v123
	v_add_f16_e32 v36, v38, v36
	v_fma_f16 v38, v45, s9, -v81
	v_add_f16_e32 v35, v37, v35
	v_fma_f16 v37, v42, s9, v77
	ds_write2_b32 v1, v2, v0 offset0:1 offset1:2
	v_pack_b32_f16 v0, v119, v112
	v_pack_b32_f16 v2, v126, v125
	v_add_f16_e32 v55, v57, v55
	v_fma_f16 v57, v44, s9, v124
	v_add_f16_e32 v36, v38, v36
	v_fma_f16 v38, v48, s15, -v82
	v_add_f16_e32 v35, v37, v35
	v_fma_f16 v37, v44, s15, v80
	ds_write2_b32 v1, v2, v0 offset0:3 offset1:4
	v_pack_b32_f16 v0, v91, v84
	v_pack_b32_f16 v2, v105, v98
	v_add_f16_e32 v55, v57, v55
	v_add_f16_e32 v36, v38, v36
	;; [unrolled: 1-line block ×3, first 2 shown]
	ds_write2_b32 v1, v2, v0 offset0:5 offset1:6
	v_pack_b32_f16 v0, v52, v51
	v_pack_b32_f16 v2, v50, v47
	ds_write2_b32 v1, v2, v0 offset0:7 offset1:8
	v_pack_b32_f16 v0, v35, v36
	v_pack_b32_f16 v2, v55, v54
	s_mov_b32 s8, 0x5040100
	ds_write2_b32 v1, v2, v0 offset0:9 offset1:10
	v_perm_b32 v0, v29, v28, s8
	v_perm_b32 v2, v30, v10, s8
	ds_write2_b32 v1, v2, v0 offset0:11 offset1:12
.LBB0_7:
	s_or_b64 exec, exec, s[4:5]
	v_mul_u32_u24_e32 v0, 10, v24
	v_lshlrev_b32_e32 v13, 2, v0
	s_load_dwordx4 s[8:11], s[2:3], 0x0
	s_waitcnt lgkmcnt(0)
	s_barrier
	global_load_dwordx4 v[0:3], v13, s[0:1]
	global_load_dwordx4 v[4:7], v13, s[0:1] offset:16
	global_load_dwordx2 v[11:12], v13, s[0:1] offset:32
	v_add_lshl_u32 v31, v9, v24, 2
	ds_read2_b32 v[14:15], v31 offset1:13
	ds_read2_b32 v[16:17], v31 offset0:26 offset1:39
	ds_read2_b32 v[18:19], v31 offset0:52 offset1:65
	;; [unrolled: 1-line block ×4, first 2 shown]
	ds_read_b32 v9, v31 offset:520
	s_waitcnt lgkmcnt(5)
	v_lshrrev_b32_e32 v13, 16, v15
	s_waitcnt lgkmcnt(4)
	v_lshrrev_b32_e32 v22, 16, v16
	v_lshrrev_b32_e32 v25, 16, v17
	s_waitcnt lgkmcnt(3)
	v_lshrrev_b32_e32 v34, 16, v18
	s_waitcnt lgkmcnt(0)
	v_lshrrev_b32_e32 v40, 16, v9
	v_lshrrev_b32_e32 v35, 16, v19
	;; [unrolled: 1-line block ×6, first 2 shown]
	s_movk_i32 s0, 0x3abb
	s_movk_i32 s1, 0x36a6
	s_mov_b32 s2, 0xb08e
	s_mov_b32 s3, 0xb93d
	;; [unrolled: 1-line block ×3, first 2 shown]
	s_waitcnt vmcnt(2)
	v_mul_f16_sdwa v41, v13, v0 dst_sel:DWORD dst_unused:UNUSED_PAD src0_sel:DWORD src1_sel:WORD_1
	v_mul_f16_sdwa v42, v15, v0 dst_sel:DWORD dst_unused:UNUSED_PAD src0_sel:DWORD src1_sel:WORD_1
	;; [unrolled: 1-line block ×4, first 2 shown]
	s_waitcnt vmcnt(0)
	v_mul_f16_sdwa v60, v9, v12 dst_sel:DWORD dst_unused:UNUSED_PAD src0_sel:DWORD src1_sel:WORD_1
	v_fma_f16 v15, v15, v0, -v41
	v_fma_f16 v13, v13, v0, v42
	v_mul_f16_sdwa v45, v25, v2 dst_sel:DWORD dst_unused:UNUSED_PAD src0_sel:DWORD src1_sel:WORD_1
	v_mul_f16_sdwa v46, v17, v2 dst_sel:DWORD dst_unused:UNUSED_PAD src0_sel:DWORD src1_sel:WORD_1
	;; [unrolled: 1-line block ×3, first 2 shown]
	v_fma_f16 v16, v16, v1, -v43
	v_fma_f16 v22, v22, v1, v44
	v_fma_f16 v40, v40, v12, v60
	v_add_f16_e32 v41, v15, v14
	v_add_f16_sdwa v42, v13, v14 dst_sel:DWORD dst_unused:UNUSED_PAD src0_sel:DWORD src1_sel:WORD_1
	v_mul_f16_sdwa v47, v34, v3 dst_sel:DWORD dst_unused:UNUSED_PAD src0_sel:DWORD src1_sel:WORD_1
	v_mul_f16_sdwa v48, v18, v3 dst_sel:DWORD dst_unused:UNUSED_PAD src0_sel:DWORD src1_sel:WORD_1
	v_fma_f16 v17, v17, v2, -v45
	v_fma_f16 v25, v25, v2, v46
	v_add_f16_e32 v44, v13, v40
	v_sub_f16_e32 v45, v13, v40
	v_add_f16_e32 v13, v41, v16
	v_add_f16_e32 v41, v42, v22
	v_mul_f16_sdwa v49, v35, v4 dst_sel:DWORD dst_unused:UNUSED_PAD src0_sel:DWORD src1_sel:WORD_1
	v_mul_f16_sdwa v50, v19, v4 dst_sel:DWORD dst_unused:UNUSED_PAD src0_sel:DWORD src1_sel:WORD_1
	v_fma_f16 v18, v18, v3, -v47
	v_fma_f16 v34, v34, v3, v48
	v_add_f16_e32 v13, v13, v17
	v_add_f16_e32 v41, v41, v25
	v_mul_f16_sdwa v51, v36, v5 dst_sel:DWORD dst_unused:UNUSED_PAD src0_sel:DWORD src1_sel:WORD_1
	v_mul_f16_sdwa v52, v20, v5 dst_sel:DWORD dst_unused:UNUSED_PAD src0_sel:DWORD src1_sel:WORD_1
	v_fma_f16 v19, v19, v4, -v49
	v_fma_f16 v35, v35, v4, v50
	;; [unrolled: 6-line block ×5, first 2 shown]
	v_add_f16_e32 v13, v13, v21
	v_add_f16_e32 v41, v41, v37
	v_fma_f16 v33, v33, v11, -v57
	v_fma_f16 v39, v39, v11, v58
	v_add_f16_e32 v13, v13, v32
	v_add_f16_e32 v41, v41, v38
	v_fma_f16 v9, v9, v12, -v59
	v_add_f16_e32 v13, v13, v33
	v_add_f16_e32 v41, v41, v39
	;; [unrolled: 1-line block ×3, first 2 shown]
	v_sub_f16_e32 v15, v15, v9
	v_mul_f16_e32 v42, 0xb853, v45
	v_add_f16_e32 v9, v13, v9
	v_add_f16_sdwa v13, v41, v40 dst_sel:WORD_1 dst_unused:UNUSED_PAD src0_sel:DWORD src1_sel:DWORD
	v_fma_f16 v46, v43, s0, -v42
	v_or_b32_e32 v13, v13, v9
	v_mul_f16_e32 v9, 0xb853, v15
	v_fma_f16 v41, v43, s0, v42
	v_mul_f16_e32 v42, 0xbb47, v45
	v_mul_f16_e32 v48, 0xbb47, v15
	v_mul_f16_e32 v50, 0xbbeb, v45
	v_mul_f16_e32 v52, 0xbbeb, v15
	v_mul_f16_e32 v54, 0xba0c, v45
	v_mul_f16_e32 v56, 0xba0c, v15
	v_mul_f16_e32 v45, 0xb482, v45
	v_mul_f16_e32 v15, 0xb482, v15
	v_fma_f16 v40, v44, s0, v9
	v_fma_f16 v9, v44, s0, -v9
	v_fma_f16 v47, v43, s1, -v42
	v_fma_f16 v49, v44, s1, v48
	v_fma_f16 v42, v43, s1, v42
	v_fma_f16 v48, v44, s1, -v48
	v_fma_f16 v51, v43, s2, -v50
	v_fma_f16 v53, v44, s2, v52
	;; [unrolled: 4-line block ×4, first 2 shown]
	v_fma_f16 v43, v43, s4, v45
	v_fma_f16 v15, v44, s4, -v15
	v_add_f16_e32 v44, v22, v39
	v_sub_f16_e32 v22, v22, v39
	v_add_f16_e32 v46, v46, v14
	v_add_f16_sdwa v40, v40, v14 dst_sel:DWORD dst_unused:UNUSED_PAD src0_sel:DWORD src1_sel:WORD_1
	v_add_f16_e32 v41, v41, v14
	v_add_f16_sdwa v9, v9, v14 dst_sel:DWORD dst_unused:UNUSED_PAD src0_sel:DWORD src1_sel:WORD_1
	;; [unrolled: 2-line block ×10, first 2 shown]
	v_add_f16_e32 v15, v16, v33
	v_sub_f16_e32 v16, v16, v33
	v_mul_f16_e32 v33, 0xbb47, v22
	v_fma_f16 v39, v15, s1, -v33
	v_mul_f16_e32 v45, 0xbb47, v16
	v_fma_f16 v33, v15, s1, v33
	v_add_f16_e32 v33, v33, v41
	v_fma_f16 v41, v44, s1, -v45
	v_add_f16_e32 v39, v39, v46
	v_fma_f16 v46, v44, s1, v45
	v_add_f16_e32 v9, v41, v9
	v_mul_f16_e32 v41, 0xba0c, v22
	v_add_f16_e32 v40, v46, v40
	v_fma_f16 v45, v15, s3, -v41
	v_mul_f16_e32 v46, 0xba0c, v16
	v_fma_f16 v41, v15, s3, v41
	v_add_f16_e32 v45, v45, v47
	v_fma_f16 v47, v44, s3, v46
	v_add_f16_e32 v41, v41, v42
	v_fma_f16 v42, v44, s3, -v46
	v_mul_f16_e32 v46, 0x3482, v22
	v_add_f16_e32 v47, v47, v49
	v_add_f16_e32 v42, v42, v48
	v_fma_f16 v48, v15, s4, -v46
	v_mul_f16_e32 v49, 0x3482, v16
	v_fma_f16 v46, v15, s4, v46
	v_add_f16_e32 v48, v48, v51
	v_fma_f16 v51, v44, s4, v49
	v_add_f16_e32 v46, v46, v50
	v_fma_f16 v49, v44, s4, -v49
	v_mul_f16_e32 v50, 0x3beb, v22
	v_add_f16_e32 v51, v51, v53
	v_add_f16_e32 v49, v49, v52
	v_fma_f16 v52, v15, s2, -v50
	v_mul_f16_e32 v53, 0x3beb, v16
	v_add_f16_e32 v52, v52, v55
	v_fma_f16 v55, v44, s2, v53
	v_fma_f16 v50, v15, s2, v50
	v_fma_f16 v53, v44, s2, -v53
	v_mul_f16_e32 v22, 0x3853, v22
	v_mul_f16_e32 v16, 0x3853, v16
	v_add_f16_e32 v50, v50, v54
	v_add_f16_e32 v53, v53, v56
	v_fma_f16 v54, v15, s0, -v22
	v_fma_f16 v56, v44, s0, v16
	v_fma_f16 v15, v15, s0, v22
	v_fma_f16 v16, v44, s0, -v16
	v_add_f16_e32 v22, v25, v38
	v_sub_f16_e32 v25, v25, v38
	v_add_f16_e32 v14, v16, v14
	v_add_f16_e32 v16, v17, v32
	v_sub_f16_e32 v17, v17, v32
	v_mul_f16_e32 v32, 0xbbeb, v25
	v_fma_f16 v38, v16, s2, -v32
	v_add_f16_e32 v38, v38, v39
	v_mul_f16_e32 v39, 0xbbeb, v17
	v_fma_f16 v32, v16, s2, v32
	v_add_f16_e32 v32, v32, v33
	v_fma_f16 v33, v22, s2, -v39
	v_add_f16_e32 v15, v15, v43
	v_fma_f16 v43, v22, s2, v39
	v_add_f16_e32 v9, v33, v9
	v_mul_f16_e32 v33, 0x3482, v25
	v_add_f16_e32 v40, v43, v40
	v_fma_f16 v39, v16, s4, -v33
	v_mul_f16_e32 v43, 0x3482, v17
	v_fma_f16 v33, v16, s4, v33
	v_add_f16_e32 v33, v33, v41
	v_fma_f16 v41, v22, s4, -v43
	v_add_f16_e32 v41, v41, v42
	v_mul_f16_e32 v42, 0x3b47, v25
	v_fma_f16 v44, v22, s4, v43
	v_fma_f16 v43, v16, s1, -v42
	v_fma_f16 v42, v16, s1, v42
	v_add_f16_e32 v39, v39, v45
	v_mul_f16_e32 v45, 0x3b47, v17
	v_add_f16_e32 v42, v42, v46
	v_mul_f16_e32 v46, 0xb853, v25
	v_add_f16_e32 v44, v44, v47
	v_add_f16_e32 v43, v43, v48
	v_fma_f16 v47, v22, s1, v45
	v_fma_f16 v45, v22, s1, -v45
	v_fma_f16 v48, v16, s0, -v46
	v_fma_f16 v46, v16, s0, v46
	v_mul_f16_e32 v25, 0xba0c, v25
	v_add_f16_e32 v45, v45, v49
	v_mul_f16_e32 v49, 0xb853, v17
	v_add_f16_e32 v46, v46, v50
	v_fma_f16 v50, v16, s3, -v25
	v_mul_f16_e32 v17, 0xba0c, v17
	v_fma_f16 v16, v16, s3, v25
	v_add_f16_e32 v15, v16, v15
	v_fma_f16 v16, v22, s3, -v17
	v_add_f16_e32 v14, v16, v14
	v_add_f16_e32 v16, v18, v21
	v_sub_f16_e32 v18, v18, v21
	v_sub_f16_e32 v21, v34, v37
	v_add_f16_e32 v47, v47, v51
	v_add_f16_e32 v48, v48, v52
	v_fma_f16 v51, v22, s0, v49
	v_fma_f16 v49, v22, s0, -v49
	v_fma_f16 v52, v22, s3, v17
	v_mul_f16_e32 v22, 0xba0c, v21
	v_add_f16_e32 v17, v34, v37
	v_fma_f16 v25, v16, s3, -v22
	v_mul_f16_e32 v34, 0xba0c, v18
	v_fma_f16 v22, v16, s3, v22
	v_add_f16_e32 v22, v22, v32
	v_fma_f16 v32, v17, s3, -v34
	v_fma_f16 v37, v17, s3, v34
	v_add_f16_e32 v34, v32, v9
	v_mul_f16_e32 v9, 0x3beb, v21
	v_fma_f16 v32, v16, s2, -v9
	v_add_f16_e32 v25, v25, v38
	v_add_f16_e32 v38, v32, v39
	v_mul_f16_e32 v32, 0x3beb, v18
	v_fma_f16 v9, v16, s2, v9
	v_add_f16_e32 v37, v37, v40
	v_add_f16_e32 v40, v9, v33
	v_fma_f16 v9, v17, s2, -v32
	v_add_f16_e32 v41, v9, v41
	v_mul_f16_e32 v9, 0xb853, v21
	v_fma_f16 v39, v17, s2, v32
	v_fma_f16 v32, v16, s0, -v9
	v_add_f16_e32 v43, v32, v43
	v_mul_f16_e32 v32, 0xb853, v18
	v_fma_f16 v9, v16, s0, v9
	v_add_f16_e32 v42, v9, v42
	v_fma_f16 v9, v17, s0, -v32
	v_add_f16_e32 v45, v9, v45
	v_mul_f16_e32 v9, 0xb482, v21
	v_fma_f16 v33, v17, s0, v32
	v_fma_f16 v32, v16, s4, -v9
	v_add_f16_e32 v39, v39, v44
	v_add_f16_e32 v44, v33, v47
	;; [unrolled: 1-line block ×3, first 2 shown]
	v_mul_f16_e32 v32, 0xb482, v18
	v_fma_f16 v9, v16, s4, v9
	v_add_f16_e32 v49, v49, v53
	v_add_f16_e32 v46, v9, v46
	v_fma_f16 v9, v17, s4, -v32
	v_add_f16_e32 v55, v55, v57
	v_add_f16_e32 v49, v9, v49
	v_mul_f16_e32 v9, 0x3b47, v21
	v_add_f16_e32 v54, v54, v58
	v_add_f16_e32 v56, v56, v59
	;; [unrolled: 1-line block ×3, first 2 shown]
	v_fma_f16 v33, v17, s4, v32
	v_fma_f16 v21, v16, s1, -v9
	v_mul_f16_e32 v18, 0x3b47, v18
	v_fma_f16 v9, v16, s1, v9
	v_sub_f16_e32 v55, v19, v20
	v_add_f16_e32 v50, v50, v54
	v_add_f16_e32 v52, v52, v56
	;; [unrolled: 1-line block ×3, first 2 shown]
	v_fma_f16 v32, v17, s1, v18
	v_add_f16_e32 v51, v9, v15
	v_fma_f16 v9, v17, s1, -v18
	v_add_f16_e32 v54, v35, v36
	v_sub_f16_e32 v18, v35, v36
	v_mul_f16_e32 v15, 0xb482, v55
	v_add_f16_e32 v21, v21, v50
	v_add_f16_e32 v50, v32, v52
	v_add_f16_e32 v52, v9, v14
	v_add_f16_e32 v53, v19, v20
	v_mul_f16_e32 v9, 0xb482, v18
	v_fma_f16 v16, v54, s4, v15
	v_fma_f16 v14, v53, s4, -v9
	v_add_f16_e32 v32, v16, v37
	v_fma_f16 v15, v54, s4, -v15
	v_mul_f16_e32 v16, 0x3853, v18
	v_add_f16_e32 v14, v14, v25
	v_fma_f16 v9, v53, s4, v9
	v_add_f16_e32 v35, v15, v34
	v_fma_f16 v15, v53, s0, -v16
	v_mul_f16_e32 v17, 0x3853, v55
	v_fma_f16 v16, v53, s0, v16
	v_mul_f16_e32 v25, 0x3b47, v55
	v_add_f16_e32 v9, v9, v22
	v_fma_f16 v19, v54, s0, v17
	v_add_f16_e32 v20, v16, v40
	v_fma_f16 v16, v54, s0, -v17
	v_mul_f16_e32 v17, 0xba0c, v18
	v_mul_f16_e32 v22, 0xba0c, v55
	v_fma_f16 v36, v54, s1, v25
	v_fma_f16 v25, v54, s1, -v25
	v_add_f16_e32 v33, v19, v39
	v_add_f16_e32 v37, v16, v41
	v_fma_f16 v16, v53, s3, -v17
	v_fma_f16 v19, v54, s3, v22
	v_fma_f16 v17, v53, s3, v17
	v_add_f16_e32 v40, v25, v49
	v_mul_f16_e32 v25, 0xbbeb, v18
	v_add_f16_e32 v34, v19, v44
	v_add_f16_e32 v19, v17, v42
	v_fma_f16 v17, v54, s3, -v22
	v_mul_f16_e32 v22, 0x3b47, v18
	v_fma_f16 v18, v53, s2, -v25
	v_mul_f16_e32 v41, 0xbbeb, v55
	v_add_f16_e32 v18, v18, v21
	v_fma_f16 v21, v54, s2, v41
	v_add_f16_e32 v15, v15, v38
	v_add_f16_e32 v38, v21, v50
	v_fma_f16 v21, v53, s2, v25
	v_fma_f16 v25, v54, s2, -v41
	v_add_f16_e32 v16, v16, v43
	v_add_f16_e32 v39, v17, v45
	v_fma_f16 v17, v53, s1, -v22
	v_add_f16_e32 v41, v25, v52
	v_lshl_add_u32 v25, v24, 2, v26
	v_pack_b32_f16 v42, v14, v32
	v_add_f16_e32 v17, v17, v47
	v_add_f16_e32 v36, v36, v48
	v_fma_f16 v22, v53, s1, v22
	ds_write2_b32 v25, v13, v42 offset1:13
	v_pack_b32_f16 v42, v15, v33
	v_pack_b32_f16 v43, v16, v34
	v_add_f16_e32 v22, v22, v46
	v_add_f16_e32 v21, v21, v51
	ds_write2_b32 v25, v42, v43 offset0:26 offset1:39
	v_pack_b32_f16 v42, v17, v36
	v_pack_b32_f16 v43, v18, v38
	ds_write2_b32 v25, v42, v43 offset0:52 offset1:65
	v_pack_b32_f16 v42, v21, v41
	v_pack_b32_f16 v43, v22, v40
	;; [unrolled: 3-line block ×3, first 2 shown]
	ds_write2_b32 v25, v42, v43 offset0:104 offset1:117
	v_pack_b32_f16 v42, v9, v35
	ds_write_b32 v25, v42 offset:520
	s_waitcnt lgkmcnt(0)
	s_barrier
	s_and_saveexec_b64 s[0:1], vcc
	s_cbranch_execz .LBB0_9
; %bb.8:
	global_load_dword v54, v23, s[6:7] offset:572
	s_add_u32 s2, s6, 0x23c
	s_addc_u32 s3, s7, 0
	global_load_dword v55, v23, s[2:3] offset:44
	global_load_dword v56, v23, s[2:3] offset:88
	;; [unrolled: 1-line block ×11, first 2 shown]
	ds_read2_b32 v[42:43], v25 offset1:11
	ds_read2_b32 v[44:45], v25 offset0:22 offset1:33
	ds_read2_b32 v[46:47], v25 offset0:44 offset1:55
	ds_read2_b32 v[48:49], v25 offset0:66 offset1:77
	ds_read2_b32 v[50:51], v25 offset0:88 offset1:99
	ds_read2_b32 v[52:53], v25 offset0:110 offset1:121
	global_load_dword v66, v23, s[2:3] offset:528
	s_waitcnt lgkmcnt(5)
	v_lshrrev_b32_e32 v67, 16, v42
	v_lshrrev_b32_e32 v68, 16, v43
	s_waitcnt lgkmcnt(4)
	v_lshrrev_b32_e32 v69, 16, v44
	v_lshrrev_b32_e32 v70, 16, v45
	;; [unrolled: 3-line block ×5, first 2 shown]
	s_waitcnt vmcnt(9)
	v_mul_f16_sdwa v79, v70, v57 dst_sel:DWORD dst_unused:UNUSED_PAD src0_sel:DWORD src1_sel:WORD_1
	v_mul_f16_sdwa v80, v45, v57 dst_sel:DWORD dst_unused:UNUSED_PAD src0_sel:DWORD src1_sel:WORD_1
	s_waitcnt vmcnt(8)
	v_mul_f16_sdwa v81, v71, v58 dst_sel:DWORD dst_unused:UNUSED_PAD src0_sel:DWORD src1_sel:WORD_1
	v_mul_f16_sdwa v82, v46, v58 dst_sel:DWORD dst_unused:UNUSED_PAD src0_sel:DWORD src1_sel:WORD_1
	;; [unrolled: 3-line block ×3, first 2 shown]
	v_mul_f16_sdwa v78, v42, v54 dst_sel:DWORD dst_unused:UNUSED_PAD src0_sel:DWORD src1_sel:WORD_1
	v_fma_f16 v42, v42, v54, -v77
	v_fma_f16 v54, v67, v54, v78
	v_pack_b32_f16 v42, v42, v54
	v_mul_f16_sdwa v54, v68, v55 dst_sel:DWORD dst_unused:UNUSED_PAD src0_sel:DWORD src1_sel:WORD_1
	v_mul_f16_sdwa v67, v43, v55 dst_sel:DWORD dst_unused:UNUSED_PAD src0_sel:DWORD src1_sel:WORD_1
	;; [unrolled: 1-line block ×5, first 2 shown]
	s_waitcnt vmcnt(6)
	v_mul_f16_sdwa v85, v73, v60 dst_sel:DWORD dst_unused:UNUSED_PAD src0_sel:DWORD src1_sel:WORD_1
	v_mul_f16_sdwa v86, v48, v60 dst_sel:DWORD dst_unused:UNUSED_PAD src0_sel:DWORD src1_sel:WORD_1
	s_waitcnt vmcnt(5)
	v_mul_f16_sdwa v87, v74, v61 dst_sel:DWORD dst_unused:UNUSED_PAD src0_sel:DWORD src1_sel:WORD_1
	v_mul_f16_sdwa v88, v49, v61 dst_sel:DWORD dst_unused:UNUSED_PAD src0_sel:DWORD src1_sel:WORD_1
	;; [unrolled: 3-line block ×4, first 2 shown]
	v_fma_f16 v43, v43, v55, -v54
	v_fma_f16 v54, v68, v55, v67
	v_fma_f16 v44, v44, v56, -v77
	v_fma_f16 v55, v69, v56, v78
	;; [unrolled: 2-line block ×9, first 2 shown]
	v_pack_b32_f16 v43, v43, v54
	v_pack_b32_f16 v44, v44, v55
	;; [unrolled: 1-line block ×9, first 2 shown]
	ds_write2_b32 v25, v42, v43 offset1:11
	ds_write2_b32 v25, v44, v45 offset0:22 offset1:33
	ds_write2_b32 v25, v46, v47 offset0:44 offset1:55
	ds_write2_b32 v25, v48, v49 offset0:66 offset1:77
	ds_write2_b32 v25, v50, v51 offset0:88 offset1:99
	s_waitcnt lgkmcnt(5)
	v_lshrrev_b32_e32 v42, 16, v52
	s_waitcnt vmcnt(2)
	v_mul_f16_sdwa v43, v42, v64 dst_sel:DWORD dst_unused:UNUSED_PAD src0_sel:DWORD src1_sel:WORD_1
	v_mul_f16_sdwa v44, v52, v64 dst_sel:DWORD dst_unused:UNUSED_PAD src0_sel:DWORD src1_sel:WORD_1
	v_fma_f16 v43, v52, v64, -v43
	v_fma_f16 v42, v42, v64, v44
	ds_read_b32 v45, v25 offset:528
	v_pack_b32_f16 v42, v43, v42
	v_lshrrev_b32_e32 v43, 16, v53
	s_waitcnt vmcnt(1)
	v_mul_f16_sdwa v44, v43, v65 dst_sel:DWORD dst_unused:UNUSED_PAD src0_sel:DWORD src1_sel:WORD_1
	v_mul_f16_sdwa v46, v53, v65 dst_sel:DWORD dst_unused:UNUSED_PAD src0_sel:DWORD src1_sel:WORD_1
	v_fma_f16 v44, v53, v65, -v44
	v_fma_f16 v43, v43, v65, v46
	v_pack_b32_f16 v43, v44, v43
	ds_write2_b32 v25, v42, v43 offset0:110 offset1:121
	s_waitcnt lgkmcnt(1)
	v_lshrrev_b32_e32 v42, 16, v45
	s_waitcnt vmcnt(0)
	v_mul_f16_sdwa v43, v42, v66 dst_sel:DWORD dst_unused:UNUSED_PAD src0_sel:DWORD src1_sel:WORD_1
	v_mul_f16_sdwa v44, v45, v66 dst_sel:DWORD dst_unused:UNUSED_PAD src0_sel:DWORD src1_sel:WORD_1
	v_fma_f16 v43, v45, v66, -v43
	v_fma_f16 v42, v42, v66, v44
	v_pack_b32_f16 v42, v43, v42
	ds_write_b32 v25, v42 offset:528
.LBB0_9:
	s_or_b64 exec, exec, s[0:1]
	s_waitcnt lgkmcnt(0)
	s_barrier
	s_and_saveexec_b64 s[0:1], vcc
	s_cbranch_execz .LBB0_11
; %bb.10:
	ds_read2_b32 v[13:14], v25 offset1:11
	ds_read2_b32 v[15:16], v25 offset0:22 offset1:33
	ds_read2_b32 v[17:18], v25 offset0:44 offset1:55
	;; [unrolled: 1-line block ×5, first 2 shown]
	ds_read_b32 v28, v25 offset:528
	s_waitcnt lgkmcnt(6)
	v_lshrrev_b32_e32 v32, 16, v14
	s_waitcnt lgkmcnt(5)
	v_lshrrev_b32_e32 v33, 16, v15
	v_lshrrev_b32_e32 v34, 16, v16
	s_waitcnt lgkmcnt(4)
	v_lshrrev_b32_e32 v36, 16, v17
	;; [unrolled: 3-line block ×6, first 2 shown]
.LBB0_11:
	s_or_b64 exec, exec, s[0:1]
	s_barrier
	s_and_saveexec_b64 s[0:1], vcc
	s_cbranch_execz .LBB0_13
; %bb.12:
	v_add_f16_e32 v42, v29, v32
	v_mul_f16_e32 v43, 0xbbc4, v42
	v_sub_f16_e32 v44, v14, v28
	s_movk_i32 s24, 0x33a8
	v_add_f16_e32 v46, v30, v33
	v_fma_f16 v45, v44, s24, v43
	v_mul_f16_e32 v47, 0x3b15, v46
	v_sub_f16_e32 v48, v15, v10
	s_mov_b32 s14, 0xb770
	v_add_f16_sdwa v45, v45, v13 dst_sel:DWORD dst_unused:UNUSED_PAD src0_sel:DWORD src1_sel:WORD_1
	v_fma_f16 v49, v48, s14, v47
	v_add_f16_e32 v45, v49, v45
	v_add_f16_e32 v49, v35, v34
	v_mul_f16_e32 v50, 0xb9fd, v49
	v_sub_f16_e32 v51, v16, v9
	s_movk_i32 s20, 0x394e
	v_fma_f16 v52, v51, s20, v50
	v_add_f16_e32 v45, v52, v45
	v_add_f16_e32 v52, v37, v36
	v_mul_f16_e32 v53, 0x388b, v52
	v_sub_f16_e32 v54, v17, v20
	s_mov_b32 s17, 0xba95
	v_fma_f16 v55, v54, s17, v53
	v_add_f16_e32 v45, v55, v45
	v_add_f16_e32 v55, v39, v38
	v_mul_f16_e32 v56, 0xb5ac, v55
	v_sub_f16_e32 v57, v18, v19
	s_movk_i32 s25, 0x3b7b
	v_fma_f16 v58, v57, s25, v56
	v_add_f16_e32 v45, v58, v45
	v_add_f16_e32 v58, v40, v41
	v_mul_f16_e32 v59, 0x2fb7, v58
	v_sub_f16_e32 v60, v21, v22
	s_mov_b32 s19, 0xbbf1
	v_fma_f16 v61, v60, s19, v59
	v_sub_f16_e32 v62, v32, v29
	s_mov_b32 s2, 0xbbc4
	v_add_f16_e32 v45, v61, v45
	v_add_f16_e32 v61, v28, v14
	v_mul_f16_e32 v63, 0xb3a8, v62
	v_sub_f16_e32 v66, v33, v30
	s_movk_i32 s4, 0x3b15
	v_fma_f16 v64, v61, s2, v63
	v_add_f16_e32 v65, v10, v15
	v_mul_f16_e32 v67, 0x3770, v66
	v_add_f16_e32 v64, v64, v13
	v_fma_f16 v68, v65, s4, v67
	v_sub_f16_e32 v69, v34, v35
	s_mov_b32 s3, 0xb9fd
	v_add_f16_e32 v64, v68, v64
	v_add_f16_e32 v68, v9, v16
	v_mul_f16_e32 v70, 0xb94e, v69
	v_fma_f16 v71, v68, s3, v70
	v_sub_f16_e32 v72, v36, v37
	s_movk_i32 s5, 0x388b
	v_add_f16_e32 v64, v71, v64
	v_add_f16_e32 v71, v20, v17
	v_mul_f16_e32 v73, 0x3a95, v72
	v_fma_f16 v74, v71, s5, v73
	v_sub_f16_e32 v75, v38, v39
	s_mov_b32 s15, 0xb5ac
	v_add_f16_e32 v64, v74, v64
	v_add_f16_e32 v74, v19, v18
	v_mul_f16_e32 v76, 0xbb7b, v75
	v_fma_f16 v77, v74, s15, v76
	v_sub_f16_e32 v78, v41, v40
	s_movk_i32 s16, 0x2fb7
	v_add_f16_e32 v64, v77, v64
	v_add_f16_e32 v77, v22, v21
	v_mul_f16_e32 v79, 0x3bf1, v78
	v_fma_f16 v80, v77, s16, v79
	v_add_f16_e32 v64, v80, v64
	v_mul_f16_e32 v80, 0xb9fd, v42
	v_fma_f16 v81, v44, s20, v80
	v_mul_f16_e32 v82, 0x2fb7, v46
	v_add_f16_sdwa v81, v81, v13 dst_sel:DWORD dst_unused:UNUSED_PAD src0_sel:DWORD src1_sel:WORD_1
	v_fma_f16 v83, v48, s19, v82
	s_movk_i32 s27, 0x3a95
	v_add_f16_e32 v81, v83, v81
	v_mul_f16_e32 v83, 0x388b, v49
	v_fma_f16 v84, v51, s27, v83
	s_mov_b32 s18, 0xb3a8
	v_add_f16_e32 v81, v84, v81
	v_mul_f16_e32 v84, 0xbbc4, v52
	v_fma_f16 v85, v54, s18, v84
	v_add_f16_e32 v81, v85, v81
	v_mul_f16_e32 v85, 0x3b15, v55
	v_fma_f16 v86, v57, s14, v85
	;; [unrolled: 3-line block ×4, first 2 shown]
	v_mul_f16_e32 v89, 0x3bf1, v66
	v_add_f16_e32 v88, v88, v13
	v_fma_f16 v90, v65, s16, v89
	v_add_f16_e32 v88, v90, v88
	v_mul_f16_e32 v90, 0xba95, v69
	v_fma_f16 v91, v68, s5, v90
	v_add_f16_e32 v88, v91, v88
	v_mul_f16_e32 v91, 0x33a8, v72
	;; [unrolled: 3-line block ×5, first 2 shown]
	s_mov_b32 s21, 0xb94e
	v_fma_f16 v95, v44, s25, v94
	v_mul_f16_e32 v96, 0xb9fd, v46
	v_add_f16_sdwa v95, v95, v13 dst_sel:DWORD dst_unused:UNUSED_PAD src0_sel:DWORD src1_sel:WORD_1
	v_fma_f16 v97, v48, s21, v96
	v_add_f16_e32 v95, v97, v95
	v_mul_f16_e32 v97, 0x3b15, v49
	v_fma_f16 v98, v51, s14, v97
	s_movk_i32 s26, 0x3bf1
	v_add_f16_e32 v95, v98, v95
	v_mul_f16_e32 v98, 0x2fb7, v52
	v_fma_f16 v99, v54, s26, v98
	v_add_f16_e32 v95, v99, v95
	v_mul_f16_e32 v99, 0xbbc4, v55
	v_fma_f16 v100, v57, s18, v99
	v_add_f16_e32 v95, v100, v95
	v_mul_f16_e32 v100, 0x388b, v58
	v_fma_f16 v101, v60, s17, v100
	v_add_f16_e32 v95, v101, v95
	v_mul_f16_e32 v101, 0xbb7b, v62
	v_fma_f16 v102, v61, s15, v101
	v_mul_f16_e32 v103, 0x394e, v66
	v_add_f16_e32 v102, v102, v13
	v_fma_f16 v104, v65, s3, v103
	v_add_f16_e32 v102, v104, v102
	v_mul_f16_e32 v104, 0x3770, v69
	v_fma_f16 v105, v68, s4, v104
	v_add_f16_e32 v102, v105, v102
	v_mul_f16_e32 v105, 0xbbf1, v72
	v_fma_f16 v106, v71, s16, v105
	s_movk_i32 s23, 0x3770
	v_add_f16_e32 v102, v106, v102
	v_mul_f16_e32 v106, 0x33a8, v75
	v_fma_f16 v43, v44, s18, v43
	v_fma_f16 v107, v74, s2, v106
	v_add_f16_sdwa v43, v43, v13 dst_sel:DWORD dst_unused:UNUSED_PAD src0_sel:DWORD src1_sel:WORD_1
	v_fma_f16 v47, v48, s23, v47
	v_add_f16_e32 v102, v107, v102
	v_mul_f16_e32 v107, 0x3a95, v78
	v_add_f16_e32 v43, v47, v43
	v_fma_f16 v47, v51, s21, v50
	s_mov_b32 s22, 0xbb7b
	v_fma_f16 v108, v77, s5, v107
	v_add_f16_e32 v43, v47, v43
	v_fma_f16 v47, v54, s27, v53
	v_add_f16_e32 v102, v108, v102
	v_mul_f16_e32 v108, 0x2fb7, v42
	v_add_f16_e32 v43, v47, v43
	v_fma_f16 v47, v57, s22, v56
	v_fma_f16 v109, v44, s26, v108
	v_mul_f16_e32 v110, 0xbbc4, v46
	v_add_f16_e32 v43, v47, v43
	v_fma_f16 v47, v60, s26, v59
	v_add_f16_sdwa v109, v109, v13 dst_sel:DWORD dst_unused:UNUSED_PAD src0_sel:DWORD src1_sel:WORD_1
	v_fma_f16 v111, v48, s24, v110
	v_add_f16_e32 v43, v47, v43
	v_fma_f16 v47, v61, s2, -v63
	v_add_f16_e32 v109, v111, v109
	v_mul_f16_e32 v111, 0xb5ac, v49
	v_add_f16_e32 v47, v47, v13
	v_fma_f16 v50, v65, s4, -v67
	v_fma_f16 v112, v51, s22, v111
	v_add_f16_e32 v47, v50, v47
	v_fma_f16 v50, v68, s3, -v70
	v_add_f16_e32 v109, v112, v109
	v_mul_f16_e32 v112, 0x3b15, v52
	v_add_f16_e32 v47, v50, v47
	v_fma_f16 v50, v71, s5, -v73
	;; [unrolled: 7-line block ×3, first 2 shown]
	v_fma_f16 v114, v57, s27, v113
	v_add_f16_e32 v47, v50, v47
	v_fma_f16 v50, v44, s21, v80
	v_add_f16_e32 v109, v114, v109
	v_mul_f16_e32 v114, 0xb9fd, v58
	v_add_f16_sdwa v50, v50, v13 dst_sel:DWORD dst_unused:UNUSED_PAD src0_sel:DWORD src1_sel:WORD_1
	v_fma_f16 v53, v48, s26, v82
	v_fma_f16 v115, v60, s20, v114
	v_add_f16_e32 v50, v53, v50
	v_fma_f16 v53, v51, s17, v83
	v_add_f16_e32 v109, v115, v109
	v_mul_f16_e32 v115, 0xbbf1, v62
	v_add_f16_e32 v50, v53, v50
	v_fma_f16 v53, v54, s24, v84
	v_fma_f16 v116, v61, s16, v115
	v_mul_f16_e32 v117, 0xb3a8, v66
	v_add_f16_e32 v50, v53, v50
	v_fma_f16 v53, v57, s23, v85
	v_add_f16_e32 v116, v116, v13
	v_fma_f16 v118, v65, s2, v117
	;; [unrolled: 2-line block ×3, first 2 shown]
	v_add_f16_e32 v116, v118, v116
	v_mul_f16_e32 v118, 0x3b7b, v69
	v_add_f16_e32 v50, v53, v50
	v_fma_f16 v53, v61, s3, -v87
	v_fma_f16 v119, v68, s15, v118
	v_add_f16_e32 v53, v53, v13
	v_fma_f16 v56, v65, s16, -v89
	v_add_f16_e32 v116, v119, v116
	v_mul_f16_e32 v119, 0x3770, v72
	v_add_f16_e32 v53, v56, v53
	v_fma_f16 v56, v68, s5, -v90
	v_fma_f16 v120, v71, s4, v119
	v_add_f16_e32 v53, v56, v53
	v_fma_f16 v56, v71, s2, -v91
	;; [unrolled: 7-line block ×3, first 2 shown]
	v_add_f16_e32 v116, v121, v116
	v_mul_f16_e32 v121, 0xb94e, v78
	v_add_f16_e32 v53, v56, v53
	v_fma_f16 v56, v44, s22, v94
	v_fma_f16 v122, v77, s3, v121
	v_add_f16_sdwa v56, v56, v13 dst_sel:DWORD dst_unused:UNUSED_PAD src0_sel:DWORD src1_sel:WORD_1
	v_fma_f16 v59, v48, s20, v96
	v_add_f16_e32 v116, v122, v116
	v_mul_f16_e32 v122, 0x388b, v42
	v_add_f16_e32 v56, v59, v56
	v_fma_f16 v59, v51, s23, v97
	v_fma_f16 v123, v44, s27, v122
	v_mul_f16_e32 v124, 0xb5ac, v46
	v_add_f16_e32 v56, v59, v56
	v_fma_f16 v59, v54, s19, v98
	v_add_f16_sdwa v123, v123, v13 dst_sel:DWORD dst_unused:UNUSED_PAD src0_sel:DWORD src1_sel:WORD_1
	v_fma_f16 v125, v48, s25, v124
	v_add_f16_e32 v56, v59, v56
	v_fma_f16 v59, v57, s24, v99
	v_add_f16_e32 v123, v125, v123
	v_mul_f16_e32 v125, 0xbbc4, v49
	v_add_f16_e32 v56, v59, v56
	v_fma_f16 v59, v60, s27, v100
	v_fma_f16 v126, v51, s24, v125
	v_add_f16_e32 v56, v59, v56
	v_fma_f16 v59, v61, s15, -v101
	v_add_f16_e32 v123, v126, v123
	v_mul_f16_e32 v126, 0xb9fd, v52
	v_add_f16_e32 v59, v59, v13
	v_fma_f16 v63, v65, s3, -v103
	v_fma_f16 v127, v54, s21, v126
	v_add_f16_e32 v59, v63, v59
	v_fma_f16 v63, v68, s4, -v104
	v_add_f16_e32 v123, v127, v123
	v_mul_f16_e32 v127, 0x2fb7, v55
	v_add_f16_e32 v59, v63, v59
	v_fma_f16 v63, v71, s16, -v105
	;; [unrolled: 7-line block ×3, first 2 shown]
	v_fma_f16 v129, v60, s14, v128
	v_add_f16_e32 v59, v63, v59
	v_fma_f16 v63, v44, s19, v108
	v_add_f16_e32 v123, v129, v123
	v_mul_f16_e32 v129, 0xba95, v62
	v_add_f16_sdwa v63, v63, v13 dst_sel:DWORD dst_unused:UNUSED_PAD src0_sel:DWORD src1_sel:WORD_1
	v_fma_f16 v67, v48, s18, v110
	v_fma_f16 v130, v61, s5, v129
	v_mul_f16_e32 v131, 0xbb7b, v66
	v_add_f16_e32 v63, v67, v63
	v_fma_f16 v67, v51, s25, v111
	v_add_f16_e32 v130, v130, v13
	v_fma_f16 v132, v65, s15, v131
	;; [unrolled: 2-line block ×3, first 2 shown]
	v_add_f16_e32 v130, v132, v130
	v_mul_f16_e32 v132, 0xb3a8, v69
	v_add_f16_e32 v63, v67, v63
	v_fma_f16 v67, v57, s17, v113
	v_fma_f16 v133, v68, s2, v132
	v_add_f16_e32 v63, v67, v63
	v_fma_f16 v67, v60, s21, v114
	v_add_f16_e32 v130, v133, v130
	v_mul_f16_e32 v133, 0x394e, v72
	v_add_f16_e32 v63, v67, v63
	v_fma_f16 v67, v61, s16, -v115
	v_fma_f16 v134, v71, s3, v133
	v_add_f16_e32 v67, v67, v13
	v_fma_f16 v70, v65, s2, -v117
	v_add_f16_e32 v130, v134, v130
	v_mul_f16_e32 v134, 0x3bf1, v75
	v_add_f16_e32 v67, v70, v67
	v_fma_f16 v70, v68, s15, -v118
	v_fma_f16 v135, v74, s16, v134
	v_add_f16_e32 v67, v70, v67
	v_fma_f16 v70, v71, s4, -v119
	v_add_f16_e32 v130, v135, v130
	v_mul_f16_e32 v135, 0x3770, v78
	v_add_f16_e32 v67, v70, v67
	v_fma_f16 v70, v74, s5, -v120
	v_fma_f16 v136, v77, s4, v135
	v_mul_f16_e32 v42, 0x3b15, v42
	v_add_f16_e32 v67, v70, v67
	v_fma_f16 v70, v77, s3, -v121
	v_add_f16_e32 v130, v136, v130
	v_fma_f16 v136, v44, s23, v42
	v_mul_f16_e32 v46, 0x388b, v46
	v_add_f16_e32 v67, v70, v67
	v_fma_f16 v70, v44, s17, v122
	v_fma_f16 v42, v44, s14, v42
	v_add_f16_sdwa v136, v136, v13 dst_sel:DWORD dst_unused:UNUSED_PAD src0_sel:DWORD src1_sel:WORD_1
	v_fma_f16 v137, v48, s27, v46
	v_mul_f16_e32 v49, 0x2fb7, v49
	v_add_f16_sdwa v70, v70, v13 dst_sel:DWORD dst_unused:UNUSED_PAD src0_sel:DWORD src1_sel:WORD_1
	v_fma_f16 v73, v48, s22, v124
	v_add_f16_sdwa v42, v42, v13 dst_sel:DWORD dst_unused:UNUSED_PAD src0_sel:DWORD src1_sel:WORD_1
	v_fma_f16 v44, v48, s17, v46
	v_add_f16_e32 v136, v137, v136
	v_fma_f16 v137, v51, s26, v49
	v_mul_f16_e32 v52, 0xb5ac, v52
	v_add_f16_e32 v70, v73, v70
	v_fma_f16 v73, v51, s18, v125
	v_add_f16_e32 v42, v44, v42
	v_fma_f16 v44, v51, s19, v49
	v_add_f16_e32 v136, v137, v136
	v_fma_f16 v137, v54, s25, v52
	v_mul_f16_e32 v55, 0xb9fd, v55
	v_add_f16_e32 v70, v73, v70
	v_fma_f16 v73, v54, s20, v126
	v_add_f16_e32 v42, v44, v42
	;; [unrolled: 7-line block ×4, first 2 shown]
	v_fma_f16 v44, v60, s18, v58
	v_add_f16_e32 v136, v137, v136
	v_fma_f16 v137, v61, s4, v62
	v_add_f16_e32 v70, v73, v70
	v_fma_f16 v73, v61, s5, -v129
	v_add_f16_e32 v42, v44, v42
	v_fma_f16 v44, v61, s4, -v62
	v_add_f16_e32 v137, v137, v13
	v_add_f16_e32 v73, v73, v13
	;; [unrolled: 1-line block ×3, first 2 shown]
	v_add_f16_sdwa v32, v32, v13 dst_sel:DWORD dst_unused:UNUSED_PAD src0_sel:DWORD src1_sel:WORD_1
	v_add_f16_e32 v13, v14, v13
	v_add_f16_e32 v32, v33, v32
	;; [unrolled: 1-line block ×11, first 2 shown]
	v_mul_f16_e32 v66, 0xba95, v66
	v_add_f16_e32 v32, v40, v32
	v_add_f16_e32 v13, v22, v13
	v_fma_f16 v138, v65, s5, v66
	v_mul_f16_e32 v69, 0xbbf1, v69
	v_add_f16_e32 v32, v39, v32
	v_add_f16_e32 v13, v19, v13
	v_add_f16_e32 v137, v138, v137
	v_fma_f16 v138, v68, s16, v69
	v_mul_f16_e32 v72, 0xbb7b, v72
	v_add_f16_e32 v32, v37, v32
	;; [unrolled: 5-line block ×4, first 2 shown]
	v_add_f16_e32 v9, v10, v9
	v_add_f16_e32 v137, v138, v137
	v_fma_f16 v138, v77, s2, v78
	v_add_f16_sdwa v29, v29, v30 dst_sel:WORD_1 dst_unused:UNUSED_PAD src0_sel:DWORD src1_sel:DWORD
	v_add_f16_e32 v9, v28, v9
	v_add_f16_e32 v137, v138, v137
	v_fma_f16 v76, v65, s15, -v131
	v_fma_f16 v46, v65, s5, -v66
	v_or_b32_e32 v9, v29, v9
	v_lshl_add_u32 v10, v27, 2, v26
	v_add_f16_e32 v73, v76, v73
	v_fma_f16 v76, v68, s2, -v132
	v_add_f16_e32 v44, v46, v44
	v_fma_f16 v46, v68, s16, -v69
	ds_write_b32 v10, v9
	v_pack_b32_f16 v9, v130, v123
	v_pack_b32_f16 v13, v137, v136
	v_add_f16_e32 v73, v76, v73
	v_fma_f16 v76, v71, s3, -v133
	v_add_f16_e32 v44, v46, v44
	v_fma_f16 v46, v71, s15, -v72
	ds_write2_b32 v10, v13, v9 offset0:1 offset1:2
	v_pack_b32_f16 v9, v102, v95
	v_pack_b32_f16 v13, v116, v109
	v_add_f16_e32 v73, v76, v73
	v_fma_f16 v76, v74, s16, -v134
	v_add_f16_e32 v44, v46, v44
	v_fma_f16 v46, v74, s3, -v75
	ds_write2_b32 v10, v13, v9 offset0:3 offset1:4
	;; [unrolled: 7-line block ×3, first 2 shown]
	v_pack_b32_f16 v9, v53, v50
	v_pack_b32_f16 v13, v47, v43
	v_add_f16_e32 v73, v76, v73
	v_add_f16_e32 v44, v46, v44
	ds_write2_b32 v10, v13, v9 offset0:7 offset1:8
	v_pack_b32_f16 v9, v67, v63
	v_pack_b32_f16 v13, v59, v56
	ds_write2_b32 v10, v13, v9 offset0:9 offset1:10
	v_pack_b32_f16 v9, v44, v42
	v_pack_b32_f16 v13, v73, v70
	ds_write2_b32 v10, v13, v9 offset0:11 offset1:12
.LBB0_13:
	s_or_b64 exec, exec, s[0:1]
	s_waitcnt lgkmcnt(0)
	s_barrier
	ds_read2_b32 v[9:10], v31 offset1:13
	ds_read2_b32 v[13:14], v31 offset0:26 offset1:39
	ds_read2_b32 v[15:16], v31 offset0:52 offset1:65
	;; [unrolled: 1-line block ×4, first 2 shown]
	s_waitcnt lgkmcnt(4)
	v_lshrrev_b32_e32 v21, 16, v10
	v_mul_f16_sdwa v35, v0, v21 dst_sel:DWORD dst_unused:UNUSED_PAD src0_sel:WORD_1 src1_sel:DWORD
	s_waitcnt lgkmcnt(3)
	v_lshrrev_b32_e32 v22, 16, v13
	v_fma_f16 v35, v0, v10, v35
	v_mul_f16_sdwa v10, v0, v10 dst_sel:DWORD dst_unused:UNUSED_PAD src0_sel:WORD_1 src1_sel:DWORD
	v_fma_f16 v0, v0, v21, -v10
	v_mul_f16_sdwa v10, v1, v22 dst_sel:DWORD dst_unused:UNUSED_PAD src0_sel:WORD_1 src1_sel:DWORD
	v_lshrrev_b32_e32 v26, 16, v14
	v_fma_f16 v10, v1, v13, v10
	v_mul_f16_sdwa v13, v1, v13 dst_sel:DWORD dst_unused:UNUSED_PAD src0_sel:WORD_1 src1_sel:DWORD
	v_fma_f16 v1, v1, v22, -v13
	v_mul_f16_sdwa v13, v2, v26 dst_sel:DWORD dst_unused:UNUSED_PAD src0_sel:WORD_1 src1_sel:DWORD
	s_waitcnt lgkmcnt(2)
	v_lshrrev_b32_e32 v27, 16, v15
	v_fma_f16 v13, v2, v14, v13
	v_mul_f16_sdwa v14, v2, v14 dst_sel:DWORD dst_unused:UNUSED_PAD src0_sel:WORD_1 src1_sel:DWORD
	v_fma_f16 v2, v2, v26, -v14
	v_mul_f16_sdwa v14, v3, v27 dst_sel:DWORD dst_unused:UNUSED_PAD src0_sel:WORD_1 src1_sel:DWORD
	v_lshrrev_b32_e32 v28, 16, v16
	v_fma_f16 v14, v3, v15, v14
	v_mul_f16_sdwa v15, v3, v15 dst_sel:DWORD dst_unused:UNUSED_PAD src0_sel:WORD_1 src1_sel:DWORD
	v_fma_f16 v3, v3, v27, -v15
	v_mul_f16_sdwa v15, v4, v28 dst_sel:DWORD dst_unused:UNUSED_PAD src0_sel:WORD_1 src1_sel:DWORD
	s_waitcnt lgkmcnt(1)
	v_lshrrev_b32_e32 v30, 16, v17
	v_fma_f16 v15, v4, v16, v15
	v_mul_f16_sdwa v16, v4, v16 dst_sel:DWORD dst_unused:UNUSED_PAD src0_sel:WORD_1 src1_sel:DWORD
	v_fma_f16 v4, v4, v28, -v16
	v_mul_f16_sdwa v16, v5, v30 dst_sel:DWORD dst_unused:UNUSED_PAD src0_sel:WORD_1 src1_sel:DWORD
	ds_read_b32 v29, v31 offset:520
	v_lshrrev_b32_e32 v31, 16, v18
	v_fma_f16 v16, v5, v17, v16
	v_mul_f16_sdwa v17, v5, v17 dst_sel:DWORD dst_unused:UNUSED_PAD src0_sel:WORD_1 src1_sel:DWORD
	v_fma_f16 v5, v5, v30, -v17
	v_mul_f16_sdwa v17, v6, v31 dst_sel:DWORD dst_unused:UNUSED_PAD src0_sel:WORD_1 src1_sel:DWORD
	s_waitcnt lgkmcnt(1)
	v_lshrrev_b32_e32 v32, 16, v19
	v_fma_f16 v17, v6, v18, v17
	v_mul_f16_sdwa v18, v6, v18 dst_sel:DWORD dst_unused:UNUSED_PAD src0_sel:WORD_1 src1_sel:DWORD
	v_fma_f16 v6, v6, v31, -v18
	v_mul_f16_sdwa v18, v7, v32 dst_sel:DWORD dst_unused:UNUSED_PAD src0_sel:WORD_1 src1_sel:DWORD
	v_lshrrev_b32_e32 v33, 16, v20
	v_fma_f16 v18, v7, v19, v18
	v_mul_f16_sdwa v19, v7, v19 dst_sel:DWORD dst_unused:UNUSED_PAD src0_sel:WORD_1 src1_sel:DWORD
	v_fma_f16 v7, v7, v32, -v19
	v_mul_f16_sdwa v19, v11, v33 dst_sel:DWORD dst_unused:UNUSED_PAD src0_sel:WORD_1 src1_sel:DWORD
	s_waitcnt lgkmcnt(0)
	v_lshrrev_b32_e32 v34, 16, v29
	v_fma_f16 v19, v11, v20, v19
	v_mul_f16_sdwa v20, v11, v20 dst_sel:DWORD dst_unused:UNUSED_PAD src0_sel:WORD_1 src1_sel:DWORD
	v_fma_f16 v11, v11, v33, -v20
	v_mul_f16_sdwa v20, v12, v34 dst_sel:DWORD dst_unused:UNUSED_PAD src0_sel:WORD_1 src1_sel:DWORD
	v_mul_f16_sdwa v21, v12, v29 dst_sel:DWORD dst_unused:UNUSED_PAD src0_sel:WORD_1 src1_sel:DWORD
	v_fma_f16 v20, v12, v29, v20
	v_fma_f16 v12, v12, v34, -v21
	v_add_f16_e32 v21, v35, v9
	v_add_f16_sdwa v22, v0, v9 dst_sel:DWORD dst_unused:UNUSED_PAD src0_sel:DWORD src1_sel:WORD_1
	v_add_f16_e32 v21, v21, v10
	v_add_f16_e32 v22, v22, v1
	;; [unrolled: 1-line block ×17, first 2 shown]
	v_add_f16_sdwa v22, v22, v12 dst_sel:WORD_1 dst_unused:UNUSED_PAD src0_sel:DWORD src1_sel:DWORD
	v_add_f16_e32 v26, v0, v12
	v_sub_f16_e32 v0, v0, v12
	v_or_b32_e32 v21, v22, v21
	v_add_f16_e32 v22, v35, v20
	v_sub_f16_e32 v20, v35, v20
	s_mov_b32 s5, 0xb853
	v_mul_f16_e32 v12, 0xb853, v0
	s_movk_i32 s14, 0x3abb
	v_mul_f16_e32 v28, 0x3abb, v26
	s_movk_i32 s15, 0x3853
	s_mov_b32 s1, 0xbb47
	v_mul_f16_e32 v30, 0xbb47, v0
	s_movk_i32 s2, 0x36a6
	v_mul_f16_e32 v32, 0x36a6, v26
	s_movk_i32 s3, 0x3b47
	s_mov_b32 s0, 0xbbeb
	v_mul_f16_e32 v34, 0xbbeb, v0
	s_mov_b32 s4, 0xb08e
	v_mul_f16_e32 v36, 0xb08e, v26
	s_movk_i32 s16, 0x3beb
	s_mov_b32 s17, 0xba0c
	v_mul_f16_e32 v38, 0xba0c, v0
	s_mov_b32 s18, 0xb93d
	;; [unrolled: 5-line block ×3, first 2 shown]
	v_mul_f16_e32 v26, 0xbbad, v26
	s_movk_i32 s22, 0x3482
	v_fma_f16 v27, v22, s14, v12
	v_fma_f16 v29, v20, s15, v28
	v_fma_f16 v12, v22, s14, -v12
	v_fma_f16 v28, v20, s5, v28
	v_fma_f16 v31, v22, s2, v30
	v_fma_f16 v33, v20, s3, v32
	v_fma_f16 v30, v22, s2, -v30
	v_fma_f16 v32, v20, s1, v32
	;; [unrolled: 4-line block ×5, first 2 shown]
	v_add_f16_e32 v22, v1, v11
	v_sub_f16_e32 v1, v1, v11
	v_add_f16_e32 v27, v27, v9
	v_add_f16_sdwa v29, v29, v9 dst_sel:DWORD dst_unused:UNUSED_PAD src0_sel:DWORD src1_sel:WORD_1
	v_add_f16_e32 v12, v12, v9
	v_add_f16_sdwa v28, v28, v9 dst_sel:DWORD dst_unused:UNUSED_PAD src0_sel:DWORD src1_sel:WORD_1
	;; [unrolled: 2-line block ×10, first 2 shown]
	v_add_f16_e32 v20, v10, v19
	v_mul_f16_e32 v11, 0xbb47, v1
	v_sub_f16_e32 v10, v10, v19
	v_fma_f16 v19, v20, s2, v11
	v_mul_f16_e32 v26, 0x36a6, v22
	v_fma_f16 v11, v20, s2, -v11
	v_add_f16_e32 v19, v19, v27
	v_fma_f16 v27, v10, s3, v26
	v_add_f16_e32 v11, v11, v12
	v_fma_f16 v12, v10, s1, v26
	v_mul_f16_e32 v26, 0xba0c, v1
	v_add_f16_e32 v27, v27, v29
	v_add_f16_e32 v12, v12, v28
	v_fma_f16 v28, v20, s18, v26
	v_mul_f16_e32 v29, 0xb93d, v22
	v_fma_f16 v26, v20, s18, -v26
	v_add_f16_e32 v28, v28, v31
	v_fma_f16 v31, v10, s19, v29
	v_add_f16_e32 v26, v26, v30
	v_fma_f16 v29, v10, s17, v29
	v_mul_f16_e32 v30, 0x3482, v1
	v_add_f16_e32 v31, v31, v33
	v_add_f16_e32 v29, v29, v32
	;; [unrolled: 10-line block ×3, first 2 shown]
	v_fma_f16 v36, v20, s4, v34
	v_mul_f16_e32 v37, 0xb08e, v22
	v_fma_f16 v34, v20, s4, -v34
	v_mul_f16_e32 v1, 0x3853, v1
	v_add_f16_e32 v36, v36, v39
	v_fma_f16 v39, v10, s0, v37
	v_add_f16_e32 v34, v34, v38
	v_fma_f16 v37, v10, s16, v37
	v_fma_f16 v38, v20, s14, v1
	v_mul_f16_e32 v22, 0x3abb, v22
	v_fma_f16 v1, v20, s14, -v1
	v_add_f16_e32 v37, v37, v40
	v_fma_f16 v40, v10, s5, v22
	v_add_f16_e32 v0, v1, v0
	v_fma_f16 v1, v10, s15, v22
	v_add_f16_e32 v10, v2, v7
	v_sub_f16_e32 v2, v2, v7
	v_add_f16_e32 v1, v1, v9
	v_add_f16_e32 v9, v13, v18
	v_mul_f16_e32 v7, 0xbbeb, v2
	v_sub_f16_e32 v13, v13, v18
	v_fma_f16 v18, v9, s4, v7
	v_add_f16_e32 v18, v18, v19
	v_mul_f16_e32 v19, 0xb08e, v10
	v_fma_f16 v7, v9, s4, -v7
	v_add_f16_e32 v7, v7, v11
	v_fma_f16 v11, v13, s0, v19
	v_add_f16_e32 v11, v11, v12
	v_mul_f16_e32 v12, 0x3482, v2
	v_fma_f16 v20, v13, s16, v19
	v_fma_f16 v19, v9, s21, v12
	v_fma_f16 v12, v9, s21, -v12
	v_mul_f16_e32 v22, 0xbbad, v10
	v_add_f16_e32 v12, v12, v26
	v_mul_f16_e32 v26, 0x3b47, v2
	v_add_f16_e32 v20, v20, v27
	v_add_f16_e32 v19, v19, v28
	v_fma_f16 v27, v13, s20, v22
	v_fma_f16 v22, v13, s22, v22
	;; [unrolled: 1-line block ×3, first 2 shown]
	v_fma_f16 v26, v9, s2, -v26
	v_add_f16_e32 v22, v22, v29
	v_mul_f16_e32 v29, 0x36a6, v10
	v_add_f16_e32 v26, v26, v30
	v_mul_f16_e32 v30, 0xb853, v2
	v_add_f16_e32 v27, v27, v31
	v_add_f16_e32 v28, v28, v32
	v_fma_f16 v31, v13, s1, v29
	v_fma_f16 v29, v13, s3, v29
	;; [unrolled: 1-line block ×3, first 2 shown]
	v_fma_f16 v30, v9, s14, -v30
	v_mul_f16_e32 v2, 0xba0c, v2
	v_add_f16_e32 v29, v29, v33
	v_mul_f16_e32 v33, 0x3abb, v10
	v_add_f16_e32 v30, v30, v34
	v_fma_f16 v34, v9, s18, v2
	v_mul_f16_e32 v10, 0xb93d, v10
	v_fma_f16 v2, v9, s18, -v2
	v_add_f16_e32 v0, v2, v0
	v_fma_f16 v2, v13, s17, v10
	v_add_f16_e32 v9, v3, v6
	v_sub_f16_e32 v3, v3, v6
	v_add_f16_e32 v1, v2, v1
	v_add_f16_e32 v2, v14, v17
	v_mul_f16_e32 v6, 0xba0c, v3
	v_add_f16_e32 v31, v31, v35
	v_add_f16_e32 v32, v32, v36
	v_fma_f16 v35, v13, s15, v33
	v_fma_f16 v33, v13, s5, v33
	;; [unrolled: 1-line block ×3, first 2 shown]
	v_sub_f16_e32 v10, v14, v17
	v_fma_f16 v13, v2, s18, v6
	v_mul_f16_e32 v14, 0xb93d, v9
	v_fma_f16 v6, v2, s18, -v6
	v_add_f16_e32 v6, v6, v7
	v_fma_f16 v7, v10, s17, v14
	v_add_f16_e32 v7, v7, v11
	v_mul_f16_e32 v11, 0x3beb, v3
	v_add_f16_e32 v13, v13, v18
	v_fma_f16 v17, v10, s19, v14
	v_fma_f16 v14, v2, s4, v11
	v_mul_f16_e32 v18, 0xb08e, v9
	v_fma_f16 v11, v2, s4, -v11
	v_add_f16_e32 v14, v14, v19
	v_fma_f16 v19, v10, s0, v18
	v_add_f16_e32 v11, v11, v12
	v_fma_f16 v12, v10, s16, v18
	v_mul_f16_e32 v18, 0xb853, v3
	v_add_f16_e32 v17, v17, v20
	v_fma_f16 v20, v2, s14, v18
	v_fma_f16 v18, v2, s14, -v18
	v_add_f16_e32 v12, v12, v22
	v_mul_f16_e32 v22, 0x3abb, v9
	v_add_f16_e32 v18, v18, v26
	v_mul_f16_e32 v26, 0xb482, v3
	v_add_f16_e32 v19, v19, v27
	v_add_f16_e32 v20, v20, v28
	v_fma_f16 v27, v10, s15, v22
	v_fma_f16 v22, v10, s5, v22
	v_fma_f16 v28, v2, s21, v26
	v_fma_f16 v26, v2, s21, -v26
	v_mul_f16_e32 v3, 0x3b47, v3
	v_add_f16_e32 v22, v22, v29
	v_mul_f16_e32 v29, 0xbbad, v9
	v_add_f16_e32 v26, v26, v30
	v_fma_f16 v30, v2, s2, v3
	v_mul_f16_e32 v9, 0x36a6, v9
	v_fma_f16 v2, v2, s2, -v3
	v_add_f16_e32 v0, v2, v0
	v_fma_f16 v2, v10, s3, v9
	v_add_f16_e32 v3, v4, v5
	v_sub_f16_e32 v4, v4, v5
	v_add_f16_e32 v1, v2, v1
	v_add_f16_e32 v2, v15, v16
	v_mul_f16_e32 v5, 0xb482, v4
	v_add_f16_e32 v27, v27, v31
	v_add_f16_e32 v28, v28, v32
	v_fma_f16 v31, v10, s22, v29
	v_fma_f16 v29, v10, s20, v29
	;; [unrolled: 1-line block ×4, first 2 shown]
	v_sub_f16_e32 v9, v15, v16
	v_add_f16_e32 v10, v10, v13
	v_mul_f16_e32 v13, 0xbbad, v3
	v_fma_f16 v5, v2, s21, -v5
	v_add_f16_e32 v5, v5, v6
	v_fma_f16 v6, v9, s20, v13
	v_add_f16_e32 v6, v6, v7
	v_mul_f16_e32 v7, 0x3853, v4
	v_fma_f16 v15, v9, s22, v13
	v_fma_f16 v13, v2, s14, v7
	v_add_f16_e32 v13, v13, v14
	v_mul_f16_e32 v14, 0x3abb, v3
	v_fma_f16 v7, v2, s14, -v7
	v_add_f16_e32 v7, v7, v11
	v_fma_f16 v11, v9, s15, v14
	v_add_f16_e32 v11, v11, v12
	v_mul_f16_e32 v12, 0xba0c, v4
	v_fma_f16 v16, v9, s5, v14
	v_fma_f16 v14, v2, s18, v12
	v_fma_f16 v12, v2, s18, -v12
	v_add_f16_e32 v15, v15, v17
	v_mul_f16_e32 v17, 0xb93d, v3
	v_add_f16_e32 v12, v12, v18
	v_mul_f16_e32 v18, 0x3b47, v4
	v_add_f16_e32 v16, v16, v19
	v_add_f16_e32 v14, v14, v20
	v_fma_f16 v19, v9, s19, v17
	v_fma_f16 v17, v9, s17, v17
	;; [unrolled: 1-line block ×3, first 2 shown]
	v_fma_f16 v18, v2, s2, -v18
	v_mul_f16_e32 v4, 0xbbeb, v4
	v_add_f16_e32 v33, v33, v37
	v_add_f16_e32 v17, v17, v22
	v_mul_f16_e32 v22, 0x36a6, v3
	v_add_f16_e32 v18, v18, v26
	v_fma_f16 v26, v2, s4, v4
	v_mul_f16_e32 v3, 0xb08e, v3
	v_fma_f16 v2, v2, s4, -v4
	v_add_f16_e32 v39, v39, v41
	v_add_f16_e32 v38, v38, v42
	;; [unrolled: 1-line block ×5, first 2 shown]
	v_fma_f16 v27, v9, s1, v22
	v_fma_f16 v22, v9, s3, v22
	v_add_f16_e32 v0, v2, v0
	v_fma_f16 v2, v9, s0, v3
	v_add_f16_e32 v35, v35, v39
	v_add_f16_e32 v34, v34, v38
	;; [unrolled: 1-line block ×9, first 2 shown]
	v_fma_f16 v28, v9, s16, v3
	v_pack_b32_f16 v2, v10, v15
	v_pack_b32_f16 v0, v0, v1
	;; [unrolled: 1-line block ×3, first 2 shown]
	v_add_f16_e32 v27, v27, v31
	v_add_f16_e32 v26, v26, v30
	;; [unrolled: 1-line block ×3, first 2 shown]
	ds_write2_b32 v25, v21, v2 offset1:13
	v_pack_b32_f16 v2, v13, v16
	v_pack_b32_f16 v3, v14, v19
	ds_write2_b32 v25, v0, v1 offset0:78 offset1:91
	v_pack_b32_f16 v0, v12, v17
	v_pack_b32_f16 v1, v7, v11
	ds_write2_b32 v25, v2, v3 offset0:26 offset1:39
	;; [unrolled: 3-line block ×3, first 2 shown]
	v_pack_b32_f16 v0, v5, v6
	ds_write2_b32 v25, v2, v3 offset0:52 offset1:65
	ds_write_b32 v25, v0 offset:520
	s_waitcnt lgkmcnt(0)
	s_barrier
	s_and_b64 exec, exec, vcc
	s_cbranch_execz .LBB0_15
; %bb.14:
	global_load_dword v10, v23, s[6:7]
	global_load_dword v9, v23, s[6:7] offset:44
	ds_read_b32 v16, v25
	v_mad_u64_u32 v[2:3], s[0:1], s10, v8, 0
	v_mad_u64_u32 v[4:5], s[0:1], s8, v24, 0
	v_mov_b32_e32 v6, 0x7c00
	ds_read2_b32 v[0:1], v25 offset0:11 offset1:22
	v_mad_u64_u32 v[17:18], s[0:1], s11, v8, v[3:4]
	s_waitcnt lgkmcnt(1)
	v_lshrrev_b32_e32 v3, 16, v16
	v_mad_u64_u32 v[20:21], s[0:1], s9, v24, v[5:6]
	s_mov_b32 s14, 0x55ee191
	s_mov_b32 s15, 0x3f7ca4b3
	global_load_dword v11, v23, s[6:7] offset:88
	global_load_dword v12, v23, s[6:7] offset:132
	;; [unrolled: 1-line block ×6, first 2 shown]
	s_movk_i32 s18, 0x1ff
	s_movk_i32 s17, 0xffe
	v_mov_b32_e32 v5, v20
	s_movk_i32 s16, 0x40f
	s_mov_b32 s10, 0x8000
	s_waitcnt vmcnt(7)
	v_mul_f16_sdwa v8, v3, v10 dst_sel:DWORD dst_unused:UNUSED_PAD src0_sel:DWORD src1_sel:WORD_1
	v_fma_f16 v8, v16, v10, v8
	v_mul_f16_sdwa v16, v16, v10 dst_sel:DWORD dst_unused:UNUSED_PAD src0_sel:DWORD src1_sel:WORD_1
	v_cvt_f32_f16_e32 v8, v8
	v_fma_f16 v3, v10, v3, -v16
	v_cvt_f32_f16_e32 v3, v3
	v_cvt_f64_f32_e32 v[18:19], v8
	s_waitcnt lgkmcnt(0)
	v_lshrrev_b32_e32 v8, 16, v0
	v_cvt_f64_f32_e32 v[21:22], v3
	s_waitcnt vmcnt(6)
	v_mul_f16_sdwa v3, v8, v9 dst_sel:DWORD dst_unused:UNUSED_PAD src0_sel:DWORD src1_sel:WORD_1
	v_mul_f64 v[18:19], v[18:19], s[14:15]
	v_fma_f16 v3, v0, v9, v3
	v_mul_f64 v[21:22], v[21:22], s[14:15]
	v_cvt_f32_f16_e32 v10, v3
	v_mov_b32_e32 v3, v17
	v_lshlrev_b64 v[2:3], 2, v[2:3]
	v_mul_f16_sdwa v0, v0, v9 dst_sel:DWORD dst_unused:UNUSED_PAD src0_sel:DWORD src1_sel:WORD_1
	v_cvt_f64_f32_e32 v[16:17], v10
	v_and_or_b32 v10, v19, s18, v18
	v_cmp_ne_u32_e32 vcc, 0, v10
	v_and_or_b32 v21, v22, s18, v21
	v_lshrrev_b32_e32 v18, 8, v19
	v_bfe_u32 v20, v19, 20, 11
	v_cndmask_b32_e64 v10, 0, 1, vcc
	v_cmp_ne_u32_e32 vcc, 0, v21
	v_lshrrev_b32_e32 v24, 8, v22
	v_bfe_u32 v26, v22, 20, 11
	v_sub_u32_e32 v27, 0x3f1, v20
	v_cndmask_b32_e64 v21, 0, 1, vcc
	v_and_or_b32 v10, v18, s17, v10
	v_sub_u32_e32 v28, 0x3f1, v26
	v_med3_i32 v18, v27, 0, 13
	v_and_or_b32 v21, v24, s17, v21
	v_or_b32_e32 v27, 0x1000, v10
	v_add_u32_e32 v20, 0xfffffc10, v20
	v_med3_i32 v24, v28, 0, 13
	v_cmp_ne_u32_e32 vcc, 0, v10
	v_or_b32_e32 v29, 0x1000, v21
	v_lshrrev_b32_e32 v31, v18, v27
	v_add_u32_e32 v26, 0xfffffc10, v26
	v_lshl_or_b32 v28, v20, 12, v10
	v_cndmask_b32_e64 v10, 0, 1, vcc
	v_cmp_ne_u32_e32 vcc, 0, v21
	v_lshrrev_b32_e32 v32, v24, v29
	v_lshlrev_b32_e32 v18, v18, v31
	v_lshl_or_b32 v30, v26, 12, v21
	v_cndmask_b32_e64 v21, 0, 1, vcc
	v_lshlrev_b32_e32 v24, v24, v32
	v_cmp_ne_u32_e32 vcc, v18, v27
	v_cndmask_b32_e64 v18, 0, 1, vcc
	v_cmp_ne_u32_e32 vcc, v24, v29
	v_cndmask_b32_e64 v24, 0, 1, vcc
	v_or_b32_e32 v18, v31, v18
	v_cmp_gt_i32_e32 vcc, 1, v20
	v_cndmask_b32_e32 v18, v28, v18, vcc
	v_or_b32_e32 v24, v32, v24
	v_cmp_gt_i32_e32 vcc, 1, v26
	v_and_b32_e32 v27, 7, v18
	v_cndmask_b32_e32 v24, v30, v24, vcc
	v_cmp_lt_i32_e32 vcc, 5, v27
	v_cmp_eq_u32_e64 s[0:1], 3, v27
	v_lshrrev_b32_e32 v18, 2, v18
	v_and_b32_e32 v28, 7, v24
	s_or_b64 vcc, s[0:1], vcc
	v_cmp_lt_i32_e64 s[2:3], 5, v28
	v_cmp_eq_u32_e64 s[4:5], 3, v28
	v_addc_co_u32_e32 v18, vcc, 0, v18, vcc
	v_lshrrev_b32_e32 v24, 2, v24
	s_or_b64 vcc, s[4:5], s[2:3]
	v_addc_co_u32_e32 v24, vcc, 0, v24, vcc
	v_cmp_gt_i32_e32 vcc, 31, v20
	v_cndmask_b32_e32 v18, v6, v18, vcc
	v_cmp_gt_i32_e32 vcc, 31, v26
	v_lshl_or_b32 v10, v10, 9, v6
	v_cndmask_b32_e32 v24, v6, v24, vcc
	v_cmp_eq_u32_e32 vcc, s16, v20
	v_mul_f64 v[16:17], v[16:17], s[14:15]
	v_lshrrev_b32_e32 v19, 16, v19
	v_lshl_or_b32 v21, v21, 9, v6
	v_cndmask_b32_e32 v10, v18, v10, vcc
	v_cmp_eq_u32_e32 vcc, s16, v26
	v_lshrrev_b32_e32 v22, 16, v22
	v_cndmask_b32_e32 v18, v24, v21, vcc
	v_and_or_b32 v10, v19, s10, v10
	v_and_or_b32 v18, v22, s10, v18
	v_and_b32_e32 v10, 0xffff, v10
	v_lshl_or_b32 v10, v18, 16, v10
	v_mov_b32_e32 v18, s13
	v_add_co_u32_e32 v19, vcc, s12, v2
	v_addc_co_u32_e32 v18, vcc, v18, v3, vcc
	v_lshlrev_b64 v[2:3], 2, v[4:5]
	v_and_or_b32 v4, v17, s18, v16
	v_add_co_u32_e32 v2, vcc, v19, v2
	v_addc_co_u32_e32 v3, vcc, v18, v3, vcc
	v_cmp_ne_u32_e32 vcc, 0, v4
	v_cndmask_b32_e64 v4, 0, 1, vcc
	v_lshrrev_b32_e32 v5, 8, v17
	global_store_dword v[2:3], v10, off
	v_and_or_b32 v10, v5, s17, v4
	v_bfe_u32 v5, v17, 20, 11
	v_sub_u32_e32 v16, 0x3f1, v5
	v_or_b32_e32 v4, 0x1000, v10
	v_med3_i32 v16, v16, 0, 13
	v_lshrrev_b32_e32 v18, v16, v4
	v_lshlrev_b32_e32 v16, v16, v18
	v_cmp_ne_u32_e32 vcc, v16, v4
	v_fma_f16 v0, v9, v8, -v0
	v_cndmask_b32_e64 v4, 0, 1, vcc
	v_add_u32_e32 v16, 0xfffffc10, v5
	v_cvt_f32_f16_e32 v0, v0
	v_or_b32_e32 v4, v18, v4
	v_lshl_or_b32 v5, v16, 12, v10
	v_cmp_gt_i32_e32 vcc, 1, v16
	v_cndmask_b32_e32 v4, v5, v4, vcc
	v_and_b32_e32 v5, 7, v4
	v_cmp_lt_i32_e32 vcc, 5, v5
	v_cmp_eq_u32_e64 s[0:1], 3, v5
	v_lshrrev_b32_e32 v8, 2, v4
	v_cvt_f64_f32_e32 v[4:5], v0
	s_or_b64 vcc, s[0:1], vcc
	v_addc_co_u32_e32 v0, vcc, 0, v8, vcc
	v_mul_f64 v[4:5], v[4:5], s[14:15]
	v_cmp_gt_i32_e32 vcc, 31, v16
	v_cndmask_b32_e32 v0, v6, v0, vcc
	v_cmp_ne_u32_e32 vcc, 0, v10
	v_cndmask_b32_e64 v8, 0, 1, vcc
	v_lshl_or_b32 v8, v8, 9, v6
	v_cmp_eq_u32_e32 vcc, s16, v16
	v_cndmask_b32_e32 v0, v0, v8, vcc
	v_and_or_b32 v4, v5, s18, v4
	v_lshrrev_b32_e32 v8, 16, v17
	v_cmp_ne_u32_e32 vcc, 0, v4
	v_and_or_b32 v0, v8, s10, v0
	v_cndmask_b32_e64 v4, 0, 1, vcc
	v_lshrrev_b32_e32 v8, 8, v5
	v_bfe_u32 v9, v5, 20, 11
	v_and_or_b32 v4, v8, s17, v4
	v_sub_u32_e32 v10, 0x3f1, v9
	v_or_b32_e32 v8, 0x1000, v4
	v_med3_i32 v10, v10, 0, 13
	v_lshrrev_b32_e32 v16, v10, v8
	v_lshlrev_b32_e32 v10, v10, v16
	v_cmp_ne_u32_e32 vcc, v10, v8
	v_cndmask_b32_e64 v8, 0, 1, vcc
	v_add_u32_e32 v9, 0xfffffc10, v9
	v_or_b32_e32 v8, v16, v8
	v_lshl_or_b32 v10, v9, 12, v4
	v_cmp_gt_i32_e32 vcc, 1, v9
	v_cndmask_b32_e32 v8, v10, v8, vcc
	v_and_b32_e32 v10, 7, v8
	v_cmp_lt_i32_e32 vcc, 5, v10
	v_cmp_eq_u32_e64 s[0:1], 3, v10
	v_lshrrev_b32_e32 v8, 2, v8
	s_or_b64 vcc, s[0:1], vcc
	v_addc_co_u32_e32 v8, vcc, 0, v8, vcc
	v_cmp_gt_i32_e32 vcc, 31, v9
	v_cndmask_b32_e32 v8, v6, v8, vcc
	v_cmp_ne_u32_e32 vcc, 0, v4
	v_cndmask_b32_e64 v4, 0, 1, vcc
	v_lshl_or_b32 v4, v4, 9, v6
	v_cmp_eq_u32_e32 vcc, s16, v9
	v_cndmask_b32_e32 v4, v8, v4, vcc
	v_lshrrev_b32_e32 v8, 16, v1
	s_waitcnt vmcnt(6)
	v_mul_f16_sdwa v9, v8, v11 dst_sel:DWORD dst_unused:UNUSED_PAD src0_sel:DWORD src1_sel:WORD_1
	v_fma_f16 v9, v1, v11, v9
	v_cvt_f32_f16_e32 v9, v9
	v_lshrrev_b32_e32 v5, 16, v5
	v_and_or_b32 v4, v5, s10, v4
	v_and_b32_e32 v0, 0xffff, v0
	v_lshl_or_b32 v0, v4, 16, v0
	v_cvt_f64_f32_e32 v[4:5], v9
	s_mul_i32 s0, s9, 44
	s_mul_hi_u32 s2, s8, 44
	s_add_i32 s2, s2, s0
	v_mul_f64 v[4:5], v[4:5], s[14:15]
	s_mul_i32 s3, s8, 44
	v_mov_b32_e32 v9, s2
	v_add_co_u32_e32 v2, vcc, s3, v2
	v_addc_co_u32_e32 v3, vcc, v3, v9, vcc
	global_store_dword v[2:3], v0, off
	v_and_or_b32 v0, v5, s18, v4
	v_cmp_ne_u32_e32 vcc, 0, v0
	v_cndmask_b32_e64 v0, 0, 1, vcc
	v_lshrrev_b32_e32 v4, 8, v5
	v_bfe_u32 v9, v5, 20, 11
	v_and_or_b32 v4, v4, s17, v0
	v_sub_u32_e32 v10, 0x3f1, v9
	v_or_b32_e32 v0, 0x1000, v4
	v_med3_i32 v10, v10, 0, 13
	v_lshrrev_b32_e32 v16, v10, v0
	v_mul_f16_sdwa v1, v1, v11 dst_sel:DWORD dst_unused:UNUSED_PAD src0_sel:DWORD src1_sel:WORD_1
	v_lshlrev_b32_e32 v10, v10, v16
	v_fma_f16 v1, v11, v8, -v1
	v_cmp_ne_u32_e32 vcc, v10, v0
	v_cvt_f32_f16_e32 v1, v1
	v_cndmask_b32_e64 v0, 0, 1, vcc
	v_add_u32_e32 v9, 0xfffffc10, v9
	v_or_b32_e32 v0, v16, v0
	v_lshl_or_b32 v10, v9, 12, v4
	v_cmp_gt_i32_e32 vcc, 1, v9
	v_cndmask_b32_e32 v0, v10, v0, vcc
	v_and_b32_e32 v10, 7, v0
	v_lshrrev_b32_e32 v8, 2, v0
	v_cvt_f64_f32_e32 v[0:1], v1
	v_cmp_lt_i32_e32 vcc, 5, v10
	v_cmp_eq_u32_e64 s[0:1], 3, v10
	s_or_b64 vcc, s[0:1], vcc
	v_mul_f64 v[0:1], v[0:1], s[14:15]
	v_addc_co_u32_e32 v8, vcc, 0, v8, vcc
	v_cmp_gt_i32_e32 vcc, 31, v9
	v_cndmask_b32_e32 v8, v6, v8, vcc
	v_cmp_ne_u32_e32 vcc, 0, v4
	v_cndmask_b32_e64 v4, 0, 1, vcc
	v_lshl_or_b32 v4, v4, 9, v6
	v_cmp_eq_u32_e32 vcc, s16, v9
	v_and_or_b32 v0, v1, s18, v0
	v_cndmask_b32_e32 v4, v8, v4, vcc
	v_lshrrev_b32_e32 v5, 16, v5
	v_cmp_ne_u32_e32 vcc, 0, v0
	v_and_or_b32 v10, v5, s10, v4
	v_cndmask_b32_e64 v0, 0, 1, vcc
	v_lshrrev_b32_e32 v4, 8, v1
	v_bfe_u32 v5, v1, 20, 11
	v_and_or_b32 v0, v4, s17, v0
	v_sub_u32_e32 v8, 0x3f1, v5
	v_or_b32_e32 v4, 0x1000, v0
	v_med3_i32 v8, v8, 0, 13
	v_lshrrev_b32_e32 v9, v8, v4
	v_lshlrev_b32_e32 v8, v8, v9
	v_cmp_ne_u32_e32 vcc, v8, v4
	v_cndmask_b32_e64 v4, 0, 1, vcc
	v_add_u32_e32 v8, 0xfffffc10, v5
	v_or_b32_e32 v4, v9, v4
	v_lshl_or_b32 v5, v8, 12, v0
	v_cmp_gt_i32_e32 vcc, 1, v8
	v_cndmask_b32_e32 v4, v5, v4, vcc
	v_and_b32_e32 v5, 7, v4
	v_cmp_lt_i32_e32 vcc, 5, v5
	v_cmp_eq_u32_e64 s[0:1], 3, v5
	v_lshrrev_b32_e32 v4, 2, v4
	s_or_b64 vcc, s[0:1], vcc
	v_addc_co_u32_e32 v9, vcc, 0, v4, vcc
	ds_read2_b32 v[4:5], v25 offset0:33 offset1:44
	v_cmp_gt_i32_e32 vcc, 31, v8
	v_cndmask_b32_e32 v9, v6, v9, vcc
	v_cmp_ne_u32_e32 vcc, 0, v0
	v_cndmask_b32_e64 v0, 0, 1, vcc
	s_waitcnt lgkmcnt(0)
	v_lshrrev_b32_e32 v11, 16, v4
	s_waitcnt vmcnt(6)
	v_mul_f16_sdwa v16, v11, v12 dst_sel:DWORD dst_unused:UNUSED_PAD src0_sel:DWORD src1_sel:WORD_1
	v_fma_f16 v16, v4, v12, v16
	v_cvt_f32_f16_e32 v16, v16
	v_lshl_or_b32 v0, v0, 9, v6
	v_cmp_eq_u32_e32 vcc, s16, v8
	v_cndmask_b32_e32 v0, v9, v0, vcc
	v_cvt_f64_f32_e32 v[8:9], v16
	v_lshrrev_b32_e32 v1, 16, v1
	v_and_or_b32 v16, v1, s10, v0
	v_add_co_u32_e32 v2, vcc, s3, v2
	v_mul_f64 v[0:1], v[8:9], s[14:15]
	v_mov_b32_e32 v9, s2
	v_and_b32_e32 v10, 0xffff, v10
	v_addc_co_u32_e32 v3, vcc, v3, v9, vcc
	v_lshl_or_b32 v8, v16, 16, v10
	global_store_dword v[2:3], v8, off
	v_mul_f16_sdwa v4, v4, v12 dst_sel:DWORD dst_unused:UNUSED_PAD src0_sel:DWORD src1_sel:WORD_1
	v_and_or_b32 v0, v1, s18, v0
	v_cmp_ne_u32_e32 vcc, 0, v0
	v_cndmask_b32_e64 v0, 0, 1, vcc
	v_lshrrev_b32_e32 v8, 8, v1
	v_bfe_u32 v9, v1, 20, 11
	v_and_or_b32 v0, v8, s17, v0
	v_sub_u32_e32 v10, 0x3f1, v9
	v_or_b32_e32 v8, 0x1000, v0
	v_med3_i32 v10, v10, 0, 13
	v_lshrrev_b32_e32 v16, v10, v8
	v_lshlrev_b32_e32 v10, v10, v16
	v_cmp_ne_u32_e32 vcc, v10, v8
	v_fma_f16 v4, v12, v11, -v4
	v_cndmask_b32_e64 v8, 0, 1, vcc
	v_add_u32_e32 v10, 0xfffffc10, v9
	v_cvt_f32_f16_e32 v4, v4
	v_or_b32_e32 v8, v16, v8
	v_lshl_or_b32 v9, v10, 12, v0
	v_cmp_gt_i32_e32 vcc, 1, v10
	v_cndmask_b32_e32 v8, v9, v8, vcc
	v_and_b32_e32 v9, 7, v8
	v_cmp_lt_i32_e32 vcc, 5, v9
	v_cmp_eq_u32_e64 s[0:1], 3, v9
	v_lshrrev_b32_e32 v11, 2, v8
	v_cvt_f64_f32_e32 v[8:9], v4
	s_or_b64 vcc, s[0:1], vcc
	v_addc_co_u32_e32 v4, vcc, 0, v11, vcc
	v_mul_f64 v[8:9], v[8:9], s[14:15]
	v_cmp_gt_i32_e32 vcc, 31, v10
	v_cndmask_b32_e32 v4, v6, v4, vcc
	v_cmp_ne_u32_e32 vcc, 0, v0
	v_cndmask_b32_e64 v0, 0, 1, vcc
	v_lshl_or_b32 v0, v0, 9, v6
	v_cmp_eq_u32_e32 vcc, s16, v10
	v_cndmask_b32_e32 v0, v4, v0, vcc
	v_lshrrev_b32_e32 v1, 16, v1
	v_and_or_b32 v4, v1, s10, v0
	v_and_or_b32 v0, v9, s18, v8
	v_cmp_ne_u32_e32 vcc, 0, v0
	v_cndmask_b32_e64 v0, 0, 1, vcc
	v_lshrrev_b32_e32 v1, 8, v9
	v_bfe_u32 v8, v9, 20, 11
	v_and_or_b32 v0, v1, s17, v0
	v_sub_u32_e32 v10, 0x3f1, v8
	v_or_b32_e32 v1, 0x1000, v0
	v_med3_i32 v10, v10, 0, 13
	v_lshrrev_b32_e32 v11, v10, v1
	v_lshlrev_b32_e32 v10, v10, v11
	v_cmp_ne_u32_e32 vcc, v10, v1
	v_cndmask_b32_e64 v1, 0, 1, vcc
	v_add_u32_e32 v8, 0xfffffc10, v8
	v_or_b32_e32 v1, v11, v1
	v_lshl_or_b32 v10, v8, 12, v0
	v_cmp_gt_i32_e32 vcc, 1, v8
	v_cndmask_b32_e32 v1, v10, v1, vcc
	v_and_b32_e32 v10, 7, v1
	v_cmp_lt_i32_e32 vcc, 5, v10
	v_cmp_eq_u32_e64 s[0:1], 3, v10
	v_lshrrev_b32_e32 v10, 16, v5
	v_lshrrev_b32_e32 v1, 2, v1
	s_or_b64 vcc, s[0:1], vcc
	s_waitcnt vmcnt(6)
	v_mul_f16_sdwa v11, v10, v13 dst_sel:DWORD dst_unused:UNUSED_PAD src0_sel:DWORD src1_sel:WORD_1
	v_addc_co_u32_e32 v1, vcc, 0, v1, vcc
	v_fma_f16 v11, v5, v13, v11
	v_cmp_gt_i32_e32 vcc, 31, v8
	v_cvt_f32_f16_e32 v11, v11
	v_cndmask_b32_e32 v1, v6, v1, vcc
	v_cmp_ne_u32_e32 vcc, 0, v0
	v_cndmask_b32_e64 v0, 0, 1, vcc
	v_lshl_or_b32 v0, v0, 9, v6
	v_cmp_eq_u32_e32 vcc, s16, v8
	v_cndmask_b32_e32 v8, v1, v0, vcc
	v_cvt_f64_f32_e32 v[0:1], v11
	v_lshrrev_b32_e32 v9, 16, v9
	v_and_or_b32 v8, v9, s10, v8
	v_and_b32_e32 v4, 0xffff, v4
	v_mul_f64 v[0:1], v[0:1], s[14:15]
	v_lshl_or_b32 v4, v8, 16, v4
	v_mov_b32_e32 v8, s2
	v_add_co_u32_e32 v2, vcc, s3, v2
	v_addc_co_u32_e32 v3, vcc, v3, v8, vcc
	global_store_dword v[2:3], v4, off
	v_and_or_b32 v0, v1, s18, v0
	v_cmp_ne_u32_e32 vcc, 0, v0
	v_cndmask_b32_e64 v0, 0, 1, vcc
	v_lshrrev_b32_e32 v4, 8, v1
	v_bfe_u32 v8, v1, 20, 11
	v_and_or_b32 v0, v4, s17, v0
	v_sub_u32_e32 v9, 0x3f1, v8
	v_or_b32_e32 v4, 0x1000, v0
	v_med3_i32 v9, v9, 0, 13
	v_lshrrev_b32_e32 v11, v9, v4
	v_lshlrev_b32_e32 v9, v9, v11
	v_mul_f16_sdwa v5, v5, v13 dst_sel:DWORD dst_unused:UNUSED_PAD src0_sel:DWORD src1_sel:WORD_1
	v_cmp_ne_u32_e32 vcc, v9, v4
	v_fma_f16 v5, v13, v10, -v5
	v_cndmask_b32_e64 v4, 0, 1, vcc
	v_add_u32_e32 v8, 0xfffffc10, v8
	v_cvt_f32_f16_e32 v5, v5
	v_or_b32_e32 v4, v11, v4
	v_lshl_or_b32 v9, v8, 12, v0
	v_cmp_gt_i32_e32 vcc, 1, v8
	v_cndmask_b32_e32 v4, v9, v4, vcc
	v_and_b32_e32 v9, 7, v4
	v_cmp_lt_i32_e32 vcc, 5, v9
	v_cmp_eq_u32_e64 s[0:1], 3, v9
	v_lshrrev_b32_e32 v9, 2, v4
	v_cvt_f64_f32_e32 v[4:5], v5
	s_or_b64 vcc, s[0:1], vcc
	v_addc_co_u32_e32 v9, vcc, 0, v9, vcc
	v_mul_f64 v[4:5], v[4:5], s[14:15]
	v_cmp_gt_i32_e32 vcc, 31, v8
	v_cndmask_b32_e32 v9, v6, v9, vcc
	v_cmp_ne_u32_e32 vcc, 0, v0
	v_cndmask_b32_e64 v0, 0, 1, vcc
	v_lshl_or_b32 v0, v0, 9, v6
	v_cmp_eq_u32_e32 vcc, s16, v8
	v_cndmask_b32_e32 v0, v9, v0, vcc
	v_lshrrev_b32_e32 v1, 16, v1
	v_and_or_b32 v10, v1, s10, v0
	v_and_or_b32 v0, v5, s18, v4
	v_cmp_ne_u32_e32 vcc, 0, v0
	v_cndmask_b32_e64 v0, 0, 1, vcc
	v_lshrrev_b32_e32 v1, 8, v5
	v_and_or_b32 v4, v1, s17, v0
	v_bfe_u32 v1, v5, 20, 11
	v_sub_u32_e32 v8, 0x3f1, v1
	v_or_b32_e32 v0, 0x1000, v4
	v_med3_i32 v8, v8, 0, 13
	v_lshrrev_b32_e32 v9, v8, v0
	v_lshlrev_b32_e32 v8, v8, v9
	v_cmp_ne_u32_e32 vcc, v8, v0
	v_cndmask_b32_e64 v0, 0, 1, vcc
	v_add_u32_e32 v8, 0xfffffc10, v1
	v_or_b32_e32 v0, v9, v0
	v_lshl_or_b32 v1, v8, 12, v4
	v_cmp_gt_i32_e32 vcc, 1, v8
	v_cndmask_b32_e32 v0, v1, v0, vcc
	v_and_b32_e32 v1, 7, v0
	v_cmp_lt_i32_e32 vcc, 5, v1
	v_cmp_eq_u32_e64 s[0:1], 3, v1
	v_lshrrev_b32_e32 v0, 2, v0
	s_or_b64 vcc, s[0:1], vcc
	v_addc_co_u32_e32 v9, vcc, 0, v0, vcc
	ds_read2_b32 v[0:1], v25 offset0:55 offset1:66
	v_cmp_gt_i32_e32 vcc, 31, v8
	v_cndmask_b32_e32 v9, v6, v9, vcc
	v_cmp_ne_u32_e32 vcc, 0, v4
	v_cndmask_b32_e64 v4, 0, 1, vcc
	s_waitcnt lgkmcnt(0)
	v_lshrrev_b32_e32 v11, 16, v0
	s_waitcnt vmcnt(6)
	v_mul_f16_sdwa v12, v11, v14 dst_sel:DWORD dst_unused:UNUSED_PAD src0_sel:DWORD src1_sel:WORD_1
	v_fma_f16 v12, v0, v14, v12
	v_cvt_f32_f16_e32 v12, v12
	v_lshl_or_b32 v4, v4, 9, v6
	v_cmp_eq_u32_e32 vcc, s16, v8
	v_cndmask_b32_e32 v4, v9, v4, vcc
	v_cvt_f64_f32_e32 v[8:9], v12
	v_lshrrev_b32_e32 v5, 16, v5
	v_and_or_b32 v12, v5, s10, v4
	v_add_co_u32_e32 v2, vcc, s3, v2
	v_mul_f64 v[4:5], v[8:9], s[14:15]
	v_mov_b32_e32 v9, s2
	v_and_b32_e32 v10, 0xffff, v10
	v_addc_co_u32_e32 v3, vcc, v3, v9, vcc
	v_lshl_or_b32 v8, v12, 16, v10
	global_store_dword v[2:3], v8, off
	v_mul_f16_sdwa v0, v0, v14 dst_sel:DWORD dst_unused:UNUSED_PAD src0_sel:DWORD src1_sel:WORD_1
	v_and_or_b32 v4, v5, s18, v4
	v_cmp_ne_u32_e32 vcc, 0, v4
	v_cndmask_b32_e64 v4, 0, 1, vcc
	v_lshrrev_b32_e32 v8, 8, v5
	v_bfe_u32 v9, v5, 20, 11
	v_and_or_b32 v4, v8, s17, v4
	v_sub_u32_e32 v10, 0x3f1, v9
	v_or_b32_e32 v8, 0x1000, v4
	v_med3_i32 v10, v10, 0, 13
	v_lshrrev_b32_e32 v12, v10, v8
	v_lshlrev_b32_e32 v10, v10, v12
	v_cmp_ne_u32_e32 vcc, v10, v8
	v_fma_f16 v0, v14, v11, -v0
	v_cndmask_b32_e64 v8, 0, 1, vcc
	v_add_u32_e32 v10, 0xfffffc10, v9
	v_cvt_f32_f16_e32 v0, v0
	v_or_b32_e32 v8, v12, v8
	v_lshl_or_b32 v9, v10, 12, v4
	v_cmp_gt_i32_e32 vcc, 1, v10
	v_cndmask_b32_e32 v8, v9, v8, vcc
	v_and_b32_e32 v9, 7, v8
	v_cmp_lt_i32_e32 vcc, 5, v9
	v_cmp_eq_u32_e64 s[0:1], 3, v9
	v_lshrrev_b32_e32 v11, 2, v8
	v_cvt_f64_f32_e32 v[8:9], v0
	s_or_b64 vcc, s[0:1], vcc
	v_addc_co_u32_e32 v0, vcc, 0, v11, vcc
	v_mul_f64 v[8:9], v[8:9], s[14:15]
	v_cmp_gt_i32_e32 vcc, 31, v10
	v_cndmask_b32_e32 v0, v6, v0, vcc
	v_cmp_ne_u32_e32 vcc, 0, v4
	v_cndmask_b32_e64 v4, 0, 1, vcc
	v_lshl_or_b32 v4, v4, 9, v6
	v_cmp_eq_u32_e32 vcc, s16, v10
	v_cndmask_b32_e32 v0, v0, v4, vcc
	v_lshrrev_b32_e32 v4, 16, v5
	v_and_or_b32 v0, v4, s10, v0
	v_and_or_b32 v4, v9, s18, v8
	v_cmp_ne_u32_e32 vcc, 0, v4
	v_cndmask_b32_e64 v4, 0, 1, vcc
	v_lshrrev_b32_e32 v5, 8, v9
	v_bfe_u32 v8, v9, 20, 11
	v_and_or_b32 v4, v5, s17, v4
	v_sub_u32_e32 v10, 0x3f1, v8
	v_or_b32_e32 v5, 0x1000, v4
	v_med3_i32 v10, v10, 0, 13
	v_lshrrev_b32_e32 v11, v10, v5
	v_lshlrev_b32_e32 v10, v10, v11
	v_cmp_ne_u32_e32 vcc, v10, v5
	v_cndmask_b32_e64 v5, 0, 1, vcc
	v_add_u32_e32 v8, 0xfffffc10, v8
	v_or_b32_e32 v5, v11, v5
	v_lshl_or_b32 v10, v8, 12, v4
	v_cmp_gt_i32_e32 vcc, 1, v8
	v_cndmask_b32_e32 v5, v10, v5, vcc
	v_and_b32_e32 v10, 7, v5
	v_cmp_lt_i32_e32 vcc, 5, v10
	v_cmp_eq_u32_e64 s[0:1], 3, v10
	v_lshrrev_b32_e32 v10, 16, v1
	v_lshrrev_b32_e32 v5, 2, v5
	s_or_b64 vcc, s[0:1], vcc
	s_waitcnt vmcnt(6)
	v_mul_f16_sdwa v11, v10, v15 dst_sel:DWORD dst_unused:UNUSED_PAD src0_sel:DWORD src1_sel:WORD_1
	v_addc_co_u32_e32 v5, vcc, 0, v5, vcc
	v_fma_f16 v11, v1, v15, v11
	v_cmp_gt_i32_e32 vcc, 31, v8
	v_cvt_f32_f16_e32 v11, v11
	v_cndmask_b32_e32 v5, v6, v5, vcc
	v_cmp_ne_u32_e32 vcc, 0, v4
	v_cndmask_b32_e64 v4, 0, 1, vcc
	v_lshl_or_b32 v4, v4, 9, v6
	v_cmp_eq_u32_e32 vcc, s16, v8
	v_cndmask_b32_e32 v8, v5, v4, vcc
	v_cvt_f64_f32_e32 v[4:5], v11
	v_lshrrev_b32_e32 v9, 16, v9
	v_and_or_b32 v8, v9, s10, v8
	v_and_b32_e32 v0, 0xffff, v0
	v_mul_f64 v[4:5], v[4:5], s[14:15]
	v_lshl_or_b32 v0, v8, 16, v0
	v_mov_b32_e32 v8, s2
	v_add_co_u32_e32 v2, vcc, s3, v2
	v_addc_co_u32_e32 v3, vcc, v3, v8, vcc
	global_store_dword v[2:3], v0, off
	v_and_or_b32 v0, v5, s18, v4
	v_cmp_ne_u32_e32 vcc, 0, v0
	v_cndmask_b32_e64 v0, 0, 1, vcc
	v_lshrrev_b32_e32 v4, 8, v5
	v_bfe_u32 v8, v5, 20, 11
	v_and_or_b32 v4, v4, s17, v0
	v_sub_u32_e32 v9, 0x3f1, v8
	v_or_b32_e32 v0, 0x1000, v4
	v_med3_i32 v9, v9, 0, 13
	v_lshrrev_b32_e32 v11, v9, v0
	v_lshlrev_b32_e32 v9, v9, v11
	v_mul_f16_sdwa v1, v1, v15 dst_sel:DWORD dst_unused:UNUSED_PAD src0_sel:DWORD src1_sel:WORD_1
	v_cmp_ne_u32_e32 vcc, v9, v0
	v_fma_f16 v1, v15, v10, -v1
	v_cndmask_b32_e64 v0, 0, 1, vcc
	v_add_u32_e32 v8, 0xfffffc10, v8
	v_cvt_f32_f16_e32 v1, v1
	v_or_b32_e32 v0, v11, v0
	v_lshl_or_b32 v9, v8, 12, v4
	v_cmp_gt_i32_e32 vcc, 1, v8
	v_cndmask_b32_e32 v0, v9, v0, vcc
	v_and_b32_e32 v9, 7, v0
	v_cmp_lt_i32_e32 vcc, 5, v9
	v_cmp_eq_u32_e64 s[0:1], 3, v9
	v_lshrrev_b32_e32 v9, 2, v0
	v_cvt_f64_f32_e32 v[0:1], v1
	s_or_b64 vcc, s[0:1], vcc
	v_addc_co_u32_e32 v9, vcc, 0, v9, vcc
	v_mul_f64 v[0:1], v[0:1], s[14:15]
	v_cmp_gt_i32_e32 vcc, 31, v8
	v_cndmask_b32_e32 v9, v6, v9, vcc
	v_cmp_ne_u32_e32 vcc, 0, v4
	v_cndmask_b32_e64 v4, 0, 1, vcc
	v_lshl_or_b32 v4, v4, 9, v6
	v_cmp_eq_u32_e32 vcc, s16, v8
	v_cndmask_b32_e32 v4, v9, v4, vcc
	v_and_or_b32 v0, v1, s18, v0
	v_lshrrev_b32_e32 v5, 16, v5
	v_cmp_ne_u32_e32 vcc, 0, v0
	v_and_or_b32 v10, v5, s10, v4
	v_cndmask_b32_e64 v0, 0, 1, vcc
	v_lshrrev_b32_e32 v4, 8, v1
	v_bfe_u32 v5, v1, 20, 11
	v_and_or_b32 v0, v4, s17, v0
	v_sub_u32_e32 v8, 0x3f1, v5
	v_or_b32_e32 v4, 0x1000, v0
	v_med3_i32 v8, v8, 0, 13
	v_lshrrev_b32_e32 v9, v8, v4
	v_lshlrev_b32_e32 v8, v8, v9
	v_cmp_ne_u32_e32 vcc, v8, v4
	v_cndmask_b32_e64 v4, 0, 1, vcc
	v_add_u32_e32 v8, 0xfffffc10, v5
	v_or_b32_e32 v4, v9, v4
	v_lshl_or_b32 v5, v8, 12, v0
	v_cmp_gt_i32_e32 vcc, 1, v8
	v_cndmask_b32_e32 v4, v5, v4, vcc
	v_and_b32_e32 v5, 7, v4
	v_cmp_lt_i32_e32 vcc, 5, v5
	v_cmp_eq_u32_e64 s[0:1], 3, v5
	v_lshrrev_b32_e32 v4, 2, v4
	s_or_b64 vcc, s[0:1], vcc
	v_addc_co_u32_e32 v9, vcc, 0, v4, vcc
	ds_read2_b32 v[4:5], v25 offset0:77 offset1:88
	v_cmp_gt_i32_e32 vcc, 31, v8
	v_cndmask_b32_e32 v9, v6, v9, vcc
	v_cmp_ne_u32_e32 vcc, 0, v0
	v_cndmask_b32_e64 v0, 0, 1, vcc
	s_waitcnt lgkmcnt(0)
	v_lshrrev_b32_e32 v11, 16, v4
	s_waitcnt vmcnt(6)
	v_mul_f16_sdwa v12, v11, v7 dst_sel:DWORD dst_unused:UNUSED_PAD src0_sel:DWORD src1_sel:WORD_1
	v_fma_f16 v12, v4, v7, v12
	v_cvt_f32_f16_e32 v12, v12
	v_lshl_or_b32 v0, v0, 9, v6
	v_cmp_eq_u32_e32 vcc, s16, v8
	v_cndmask_b32_e32 v0, v9, v0, vcc
	v_cvt_f64_f32_e32 v[8:9], v12
	v_lshrrev_b32_e32 v1, 16, v1
	v_and_or_b32 v12, v1, s10, v0
	v_and_b32_e32 v10, 0xffff, v10
	v_mul_f64 v[0:1], v[8:9], s[14:15]
	global_load_dword v9, v23, s[6:7] offset:352
	v_lshl_or_b32 v8, v12, 16, v10
	v_mov_b32_e32 v10, s2
	v_add_co_u32_e32 v2, vcc, s3, v2
	v_addc_co_u32_e32 v3, vcc, v3, v10, vcc
	v_and_or_b32 v0, v1, s18, v0
	v_cmp_ne_u32_e32 vcc, 0, v0
	global_store_dword v[2:3], v8, off
	v_cndmask_b32_e64 v0, 0, 1, vcc
	v_lshrrev_b32_e32 v8, 8, v1
	v_bfe_u32 v10, v1, 20, 11
	v_and_or_b32 v0, v8, s17, v0
	v_sub_u32_e32 v12, 0x3f1, v10
	v_or_b32_e32 v8, 0x1000, v0
	v_med3_i32 v12, v12, 0, 13
	v_lshrrev_b32_e32 v13, v12, v8
	v_mul_f16_sdwa v4, v4, v7 dst_sel:DWORD dst_unused:UNUSED_PAD src0_sel:DWORD src1_sel:WORD_1
	v_lshlrev_b32_e32 v12, v12, v13
	v_fma_f16 v4, v7, v11, -v4
	v_cmp_ne_u32_e32 vcc, v12, v8
	v_cvt_f32_f16_e32 v4, v4
	v_cndmask_b32_e64 v8, 0, 1, vcc
	v_add_u32_e32 v10, 0xfffffc10, v10
	v_or_b32_e32 v8, v13, v8
	v_lshl_or_b32 v12, v10, 12, v0
	v_cmp_gt_i32_e32 vcc, 1, v10
	v_cndmask_b32_e32 v8, v12, v8, vcc
	v_and_b32_e32 v12, 7, v8
	v_lshrrev_b32_e32 v11, 2, v8
	v_cvt_f64_f32_e32 v[7:8], v4
	v_cmp_lt_i32_e32 vcc, 5, v12
	v_cmp_eq_u32_e64 s[0:1], 3, v12
	s_or_b64 vcc, s[0:1], vcc
	v_mul_f64 v[7:8], v[7:8], s[14:15]
	v_addc_co_u32_e32 v4, vcc, 0, v11, vcc
	v_cmp_gt_i32_e32 vcc, 31, v10
	v_cndmask_b32_e32 v4, v6, v4, vcc
	v_cmp_ne_u32_e32 vcc, 0, v0
	v_cndmask_b32_e64 v0, 0, 1, vcc
	v_lshl_or_b32 v0, v0, 9, v6
	v_cmp_eq_u32_e32 vcc, s16, v10
	v_cndmask_b32_e32 v0, v4, v0, vcc
	v_lshrrev_b32_e32 v1, 16, v1
	v_and_or_b32 v4, v1, s10, v0
	v_and_or_b32 v0, v8, s18, v7
	v_cmp_ne_u32_e32 vcc, 0, v0
	v_cndmask_b32_e64 v0, 0, 1, vcc
	v_lshrrev_b32_e32 v1, 8, v8
	v_bfe_u32 v7, v8, 20, 11
	v_and_or_b32 v0, v1, s17, v0
	v_sub_u32_e32 v10, 0x3f1, v7
	v_or_b32_e32 v1, 0x1000, v0
	v_med3_i32 v10, v10, 0, 13
	v_lshrrev_b32_e32 v11, v10, v1
	v_lshlrev_b32_e32 v10, v10, v11
	v_cmp_ne_u32_e32 vcc, v10, v1
	v_cndmask_b32_e64 v1, 0, 1, vcc
	v_or_b32_e32 v1, v11, v1
	global_load_dword v11, v23, s[6:7] offset:396
	global_load_dword v12, v23, s[6:7] offset:440
	;; [unrolled: 1-line block ×3, first 2 shown]
	v_add_u32_e32 v7, 0xfffffc10, v7
	v_lshl_or_b32 v10, v7, 12, v0
	v_cmp_gt_i32_e32 vcc, 1, v7
	v_cndmask_b32_e32 v1, v10, v1, vcc
	v_and_b32_e32 v10, 7, v1
	v_cmp_lt_i32_e32 vcc, 5, v10
	v_cmp_eq_u32_e64 s[0:1], 3, v10
	v_lshrrev_b32_e32 v10, 16, v5
	v_lshrrev_b32_e32 v1, 2, v1
	s_or_b64 vcc, s[0:1], vcc
	v_addc_co_u32_e32 v1, vcc, 0, v1, vcc
	v_cmp_gt_i32_e32 vcc, 31, v7
	v_cndmask_b32_e32 v1, v6, v1, vcc
	v_cmp_ne_u32_e32 vcc, 0, v0
	v_cndmask_b32_e64 v0, 0, 1, vcc
	v_lshl_or_b32 v0, v0, 9, v6
	v_cmp_eq_u32_e32 vcc, s16, v7
	s_waitcnt vmcnt(4)
	v_mul_f16_sdwa v14, v10, v9 dst_sel:DWORD dst_unused:UNUSED_PAD src0_sel:DWORD src1_sel:WORD_1
	v_fma_f16 v14, v5, v9, v14
	v_cvt_f32_f16_e32 v14, v14
	v_cndmask_b32_e32 v7, v1, v0, vcc
	v_lshrrev_b32_e32 v8, 16, v8
	v_and_or_b32 v7, v8, s10, v7
	v_cvt_f64_f32_e32 v[0:1], v14
	v_and_b32_e32 v4, 0xffff, v4
	v_lshl_or_b32 v4, v7, 16, v4
	v_mov_b32_e32 v7, s2
	v_mul_f64 v[0:1], v[0:1], s[14:15]
	v_add_co_u32_e32 v2, vcc, s3, v2
	v_addc_co_u32_e32 v3, vcc, v3, v7, vcc
	global_store_dword v[2:3], v4, off
	v_mul_f16_sdwa v5, v5, v9 dst_sel:DWORD dst_unused:UNUSED_PAD src0_sel:DWORD src1_sel:WORD_1
	v_fma_f16 v5, v9, v10, -v5
	v_and_or_b32 v0, v1, s18, v0
	v_cmp_ne_u32_e32 vcc, 0, v0
	v_cndmask_b32_e64 v0, 0, 1, vcc
	v_lshrrev_b32_e32 v4, 8, v1
	v_bfe_u32 v7, v1, 20, 11
	v_and_or_b32 v0, v4, s17, v0
	v_sub_u32_e32 v8, 0x3f1, v7
	v_or_b32_e32 v4, 0x1000, v0
	v_med3_i32 v8, v8, 0, 13
	v_lshrrev_b32_e32 v14, v8, v4
	v_lshlrev_b32_e32 v8, v8, v14
	v_cmp_ne_u32_e32 vcc, v8, v4
	v_cndmask_b32_e64 v4, 0, 1, vcc
	v_add_u32_e32 v7, 0xfffffc10, v7
	v_cvt_f32_f16_e32 v5, v5
	v_or_b32_e32 v4, v14, v4
	v_lshl_or_b32 v8, v7, 12, v0
	v_cmp_gt_i32_e32 vcc, 1, v7
	v_cndmask_b32_e32 v4, v8, v4, vcc
	v_and_b32_e32 v8, 7, v4
	v_cmp_lt_i32_e32 vcc, 5, v8
	v_cmp_eq_u32_e64 s[0:1], 3, v8
	v_lshrrev_b32_e32 v8, 2, v4
	v_cvt_f64_f32_e32 v[4:5], v5
	s_or_b64 vcc, s[0:1], vcc
	v_addc_co_u32_e32 v8, vcc, 0, v8, vcc
	v_mul_f64 v[4:5], v[4:5], s[14:15]
	v_cmp_gt_i32_e32 vcc, 31, v7
	v_cndmask_b32_e32 v8, v6, v8, vcc
	v_cmp_ne_u32_e32 vcc, 0, v0
	v_cndmask_b32_e64 v0, 0, 1, vcc
	v_lshl_or_b32 v0, v0, 9, v6
	v_cmp_eq_u32_e32 vcc, s16, v7
	v_cndmask_b32_e32 v0, v8, v0, vcc
	v_lshrrev_b32_e32 v1, 16, v1
	v_and_or_b32 v9, v1, s10, v0
	v_and_or_b32 v0, v5, s18, v4
	v_cmp_ne_u32_e32 vcc, 0, v0
	v_cndmask_b32_e64 v0, 0, 1, vcc
	v_lshrrev_b32_e32 v1, 8, v5
	v_and_or_b32 v4, v1, s17, v0
	v_bfe_u32 v1, v5, 20, 11
	v_sub_u32_e32 v7, 0x3f1, v1
	v_or_b32_e32 v0, 0x1000, v4
	v_med3_i32 v7, v7, 0, 13
	v_lshrrev_b32_e32 v8, v7, v0
	v_lshlrev_b32_e32 v7, v7, v8
	v_cmp_ne_u32_e32 vcc, v7, v0
	v_cndmask_b32_e64 v0, 0, 1, vcc
	v_add_u32_e32 v7, 0xfffffc10, v1
	v_or_b32_e32 v0, v8, v0
	v_lshl_or_b32 v1, v7, 12, v4
	v_cmp_gt_i32_e32 vcc, 1, v7
	v_cndmask_b32_e32 v0, v1, v0, vcc
	v_and_b32_e32 v1, 7, v0
	v_cmp_lt_i32_e32 vcc, 5, v1
	v_cmp_eq_u32_e64 s[0:1], 3, v1
	v_lshrrev_b32_e32 v0, 2, v0
	s_or_b64 vcc, s[0:1], vcc
	v_addc_co_u32_e32 v8, vcc, 0, v0, vcc
	ds_read2_b32 v[0:1], v25 offset0:99 offset1:110
	v_cmp_gt_i32_e32 vcc, 31, v7
	v_cndmask_b32_e32 v8, v6, v8, vcc
	v_cmp_ne_u32_e32 vcc, 0, v4
	v_cndmask_b32_e64 v4, 0, 1, vcc
	s_waitcnt lgkmcnt(0)
	v_lshrrev_b32_e32 v10, 16, v0
	s_waitcnt vmcnt(3)
	v_mul_f16_sdwa v14, v10, v11 dst_sel:DWORD dst_unused:UNUSED_PAD src0_sel:DWORD src1_sel:WORD_1
	v_fma_f16 v14, v0, v11, v14
	v_cvt_f32_f16_e32 v14, v14
	v_lshl_or_b32 v4, v4, 9, v6
	v_cmp_eq_u32_e32 vcc, s16, v7
	v_cndmask_b32_e32 v4, v8, v4, vcc
	v_cvt_f64_f32_e32 v[7:8], v14
	v_lshrrev_b32_e32 v5, 16, v5
	v_and_or_b32 v14, v5, s10, v4
	v_add_co_u32_e32 v2, vcc, s3, v2
	v_mul_f64 v[4:5], v[7:8], s[14:15]
	v_mov_b32_e32 v8, s2
	v_and_b32_e32 v9, 0xffff, v9
	v_addc_co_u32_e32 v3, vcc, v3, v8, vcc
	v_lshl_or_b32 v7, v14, 16, v9
	global_store_dword v[2:3], v7, off
	v_mul_f16_sdwa v0, v0, v11 dst_sel:DWORD dst_unused:UNUSED_PAD src0_sel:DWORD src1_sel:WORD_1
	v_and_or_b32 v4, v5, s18, v4
	v_cmp_ne_u32_e32 vcc, 0, v4
	v_cndmask_b32_e64 v4, 0, 1, vcc
	v_lshrrev_b32_e32 v7, 8, v5
	v_bfe_u32 v8, v5, 20, 11
	v_and_or_b32 v4, v7, s17, v4
	v_sub_u32_e32 v9, 0x3f1, v8
	v_or_b32_e32 v7, 0x1000, v4
	v_med3_i32 v9, v9, 0, 13
	v_lshrrev_b32_e32 v14, v9, v7
	v_lshlrev_b32_e32 v9, v9, v14
	v_cmp_ne_u32_e32 vcc, v9, v7
	v_fma_f16 v0, v11, v10, -v0
	v_cndmask_b32_e64 v7, 0, 1, vcc
	v_add_u32_e32 v9, 0xfffffc10, v8
	v_cvt_f32_f16_e32 v0, v0
	v_or_b32_e32 v7, v14, v7
	v_lshl_or_b32 v8, v9, 12, v4
	v_cmp_gt_i32_e32 vcc, 1, v9
	v_cndmask_b32_e32 v7, v8, v7, vcc
	v_and_b32_e32 v8, 7, v7
	v_cmp_lt_i32_e32 vcc, 5, v8
	v_cmp_eq_u32_e64 s[0:1], 3, v8
	v_lshrrev_b32_e32 v10, 2, v7
	v_cvt_f64_f32_e32 v[7:8], v0
	s_or_b64 vcc, s[0:1], vcc
	v_addc_co_u32_e32 v0, vcc, 0, v10, vcc
	v_mul_f64 v[7:8], v[7:8], s[14:15]
	v_cmp_gt_i32_e32 vcc, 31, v9
	v_cndmask_b32_e32 v0, v6, v0, vcc
	v_cmp_ne_u32_e32 vcc, 0, v4
	v_cndmask_b32_e64 v4, 0, 1, vcc
	v_lshl_or_b32 v4, v4, 9, v6
	v_cmp_eq_u32_e32 vcc, s16, v9
	v_cndmask_b32_e32 v0, v0, v4, vcc
	v_lshrrev_b32_e32 v4, 16, v5
	v_and_or_b32 v0, v4, s10, v0
	v_and_or_b32 v4, v8, s18, v7
	v_cmp_ne_u32_e32 vcc, 0, v4
	v_cndmask_b32_e64 v4, 0, 1, vcc
	v_lshrrev_b32_e32 v5, 8, v8
	v_bfe_u32 v7, v8, 20, 11
	v_and_or_b32 v4, v5, s17, v4
	v_sub_u32_e32 v9, 0x3f1, v7
	v_or_b32_e32 v5, 0x1000, v4
	v_med3_i32 v9, v9, 0, 13
	v_lshrrev_b32_e32 v10, v9, v5
	v_lshlrev_b32_e32 v9, v9, v10
	v_cmp_ne_u32_e32 vcc, v9, v5
	v_cndmask_b32_e64 v5, 0, 1, vcc
	v_add_u32_e32 v7, 0xfffffc10, v7
	v_or_b32_e32 v5, v10, v5
	v_lshl_or_b32 v9, v7, 12, v4
	v_cmp_gt_i32_e32 vcc, 1, v7
	v_cndmask_b32_e32 v5, v9, v5, vcc
	v_and_b32_e32 v9, 7, v5
	v_cmp_lt_i32_e32 vcc, 5, v9
	v_cmp_eq_u32_e64 s[0:1], 3, v9
	v_lshrrev_b32_e32 v9, 16, v1
	v_lshrrev_b32_e32 v5, 2, v5
	s_or_b64 vcc, s[0:1], vcc
	s_waitcnt vmcnt(3)
	v_mul_f16_sdwa v10, v9, v12 dst_sel:DWORD dst_unused:UNUSED_PAD src0_sel:DWORD src1_sel:WORD_1
	v_addc_co_u32_e32 v5, vcc, 0, v5, vcc
	v_fma_f16 v10, v1, v12, v10
	v_cmp_gt_i32_e32 vcc, 31, v7
	v_cvt_f32_f16_e32 v10, v10
	v_cndmask_b32_e32 v5, v6, v5, vcc
	v_cmp_ne_u32_e32 vcc, 0, v4
	v_cndmask_b32_e64 v4, 0, 1, vcc
	v_lshl_or_b32 v4, v4, 9, v6
	v_cmp_eq_u32_e32 vcc, s16, v7
	v_cndmask_b32_e32 v7, v5, v4, vcc
	v_cvt_f64_f32_e32 v[4:5], v10
	v_lshrrev_b32_e32 v8, 16, v8
	v_and_or_b32 v7, v8, s10, v7
	v_and_b32_e32 v0, 0xffff, v0
	v_mul_f64 v[4:5], v[4:5], s[14:15]
	v_lshl_or_b32 v0, v7, 16, v0
	v_mov_b32_e32 v7, s2
	v_add_co_u32_e32 v2, vcc, s3, v2
	v_addc_co_u32_e32 v3, vcc, v3, v7, vcc
	global_store_dword v[2:3], v0, off
	v_and_or_b32 v0, v5, s18, v4
	v_cmp_ne_u32_e32 vcc, 0, v0
	v_cndmask_b32_e64 v0, 0, 1, vcc
	v_lshrrev_b32_e32 v4, 8, v5
	v_bfe_u32 v7, v5, 20, 11
	v_and_or_b32 v4, v4, s17, v0
	v_sub_u32_e32 v8, 0x3f1, v7
	v_or_b32_e32 v0, 0x1000, v4
	v_med3_i32 v8, v8, 0, 13
	v_lshrrev_b32_e32 v10, v8, v0
	v_lshlrev_b32_e32 v8, v8, v10
	v_mul_f16_sdwa v1, v1, v12 dst_sel:DWORD dst_unused:UNUSED_PAD src0_sel:DWORD src1_sel:WORD_1
	v_cmp_ne_u32_e32 vcc, v8, v0
	v_fma_f16 v1, v12, v9, -v1
	v_cndmask_b32_e64 v0, 0, 1, vcc
	v_add_u32_e32 v7, 0xfffffc10, v7
	v_cvt_f32_f16_e32 v1, v1
	v_or_b32_e32 v0, v10, v0
	v_lshl_or_b32 v8, v7, 12, v4
	v_cmp_gt_i32_e32 vcc, 1, v7
	v_cndmask_b32_e32 v0, v8, v0, vcc
	v_and_b32_e32 v8, 7, v0
	v_cmp_lt_i32_e32 vcc, 5, v8
	v_cmp_eq_u32_e64 s[0:1], 3, v8
	v_lshrrev_b32_e32 v8, 2, v0
	v_cvt_f64_f32_e32 v[0:1], v1
	s_or_b64 vcc, s[0:1], vcc
	v_addc_co_u32_e32 v8, vcc, 0, v8, vcc
	v_mul_f64 v[0:1], v[0:1], s[14:15]
	v_cmp_gt_i32_e32 vcc, 31, v7
	v_cndmask_b32_e32 v8, v6, v8, vcc
	v_cmp_ne_u32_e32 vcc, 0, v4
	v_cndmask_b32_e64 v4, 0, 1, vcc
	v_lshl_or_b32 v4, v4, 9, v6
	v_cmp_eq_u32_e32 vcc, s16, v7
	v_cndmask_b32_e32 v4, v8, v4, vcc
	v_and_or_b32 v0, v1, s18, v0
	v_lshrrev_b32_e32 v5, 16, v5
	v_cmp_ne_u32_e32 vcc, 0, v0
	v_and_or_b32 v9, v5, s10, v4
	v_cndmask_b32_e64 v0, 0, 1, vcc
	v_lshrrev_b32_e32 v4, 8, v1
	v_bfe_u32 v5, v1, 20, 11
	v_and_or_b32 v0, v4, s17, v0
	v_sub_u32_e32 v7, 0x3f1, v5
	v_or_b32_e32 v4, 0x1000, v0
	v_med3_i32 v7, v7, 0, 13
	v_lshrrev_b32_e32 v8, v7, v4
	v_lshlrev_b32_e32 v7, v7, v8
	v_cmp_ne_u32_e32 vcc, v7, v4
	v_cndmask_b32_e64 v4, 0, 1, vcc
	v_add_u32_e32 v7, 0xfffffc10, v5
	v_or_b32_e32 v4, v8, v4
	v_lshl_or_b32 v5, v7, 12, v0
	v_cmp_gt_i32_e32 vcc, 1, v7
	v_cndmask_b32_e32 v4, v5, v4, vcc
	v_and_b32_e32 v5, 7, v4
	v_cmp_lt_i32_e32 vcc, 5, v5
	v_cmp_eq_u32_e64 s[0:1], 3, v5
	v_lshrrev_b32_e32 v4, 2, v4
	s_or_b64 vcc, s[0:1], vcc
	v_addc_co_u32_e32 v8, vcc, 0, v4, vcc
	ds_read2_b32 v[4:5], v25 offset0:121 offset1:132
	v_cmp_gt_i32_e32 vcc, 31, v7
	v_cndmask_b32_e32 v8, v6, v8, vcc
	v_cmp_ne_u32_e32 vcc, 0, v0
	v_cndmask_b32_e64 v0, 0, 1, vcc
	s_waitcnt lgkmcnt(0)
	v_lshrrev_b32_e32 v10, 16, v4
	s_waitcnt vmcnt(3)
	v_mul_f16_sdwa v11, v10, v13 dst_sel:DWORD dst_unused:UNUSED_PAD src0_sel:DWORD src1_sel:WORD_1
	v_fma_f16 v11, v4, v13, v11
	v_cvt_f32_f16_e32 v11, v11
	v_lshl_or_b32 v0, v0, 9, v6
	v_cmp_eq_u32_e32 vcc, s16, v7
	v_cndmask_b32_e32 v0, v8, v0, vcc
	v_cvt_f64_f32_e32 v[7:8], v11
	v_lshrrev_b32_e32 v1, 16, v1
	v_and_or_b32 v11, v1, s10, v0
	v_add_co_u32_e32 v2, vcc, s3, v2
	v_mul_f64 v[0:1], v[7:8], s[14:15]
	v_mov_b32_e32 v8, s2
	v_and_b32_e32 v9, 0xffff, v9
	v_addc_co_u32_e32 v3, vcc, v3, v8, vcc
	v_lshl_or_b32 v7, v11, 16, v9
	global_store_dword v[2:3], v7, off
	v_mul_f16_sdwa v4, v4, v13 dst_sel:DWORD dst_unused:UNUSED_PAD src0_sel:DWORD src1_sel:WORD_1
	v_and_or_b32 v0, v1, s18, v0
	v_cmp_ne_u32_e32 vcc, 0, v0
	v_cndmask_b32_e64 v0, 0, 1, vcc
	v_lshrrev_b32_e32 v7, 8, v1
	v_bfe_u32 v8, v1, 20, 11
	v_and_or_b32 v0, v7, s17, v0
	v_sub_u32_e32 v9, 0x3f1, v8
	v_or_b32_e32 v7, 0x1000, v0
	v_med3_i32 v9, v9, 0, 13
	v_lshrrev_b32_e32 v11, v9, v7
	v_lshlrev_b32_e32 v9, v9, v11
	v_cmp_ne_u32_e32 vcc, v9, v7
	v_fma_f16 v4, v13, v10, -v4
	v_cndmask_b32_e64 v7, 0, 1, vcc
	v_add_u32_e32 v9, 0xfffffc10, v8
	v_cvt_f32_f16_e32 v4, v4
	v_or_b32_e32 v7, v11, v7
	v_lshl_or_b32 v8, v9, 12, v0
	v_cmp_gt_i32_e32 vcc, 1, v9
	v_cndmask_b32_e32 v7, v8, v7, vcc
	v_and_b32_e32 v8, 7, v7
	v_cmp_lt_i32_e32 vcc, 5, v8
	v_cmp_eq_u32_e64 s[0:1], 3, v8
	v_lshrrev_b32_e32 v10, 2, v7
	v_cvt_f64_f32_e32 v[7:8], v4
	s_or_b64 vcc, s[0:1], vcc
	v_addc_co_u32_e32 v4, vcc, 0, v10, vcc
	v_mul_f64 v[7:8], v[7:8], s[14:15]
	v_cmp_gt_i32_e32 vcc, 31, v9
	v_cndmask_b32_e32 v4, v6, v4, vcc
	v_cmp_ne_u32_e32 vcc, 0, v0
	v_cndmask_b32_e64 v0, 0, 1, vcc
	v_lshl_or_b32 v0, v0, 9, v6
	v_cmp_eq_u32_e32 vcc, s16, v9
	v_cndmask_b32_e32 v0, v4, v0, vcc
	v_lshrrev_b32_e32 v1, 16, v1
	v_and_or_b32 v0, v1, s10, v0
	v_and_or_b32 v1, v8, s18, v7
	v_cmp_ne_u32_e32 vcc, 0, v1
	v_cndmask_b32_e64 v1, 0, 1, vcc
	v_lshrrev_b32_e32 v4, 8, v8
	v_bfe_u32 v7, v8, 20, 11
	v_and_or_b32 v1, v4, s17, v1
	v_sub_u32_e32 v9, 0x3f1, v7
	v_or_b32_e32 v4, 0x1000, v1
	v_med3_i32 v9, v9, 0, 13
	v_lshrrev_b32_e32 v10, v9, v4
	v_lshlrev_b32_e32 v9, v9, v10
	v_cmp_ne_u32_e32 vcc, v9, v4
	v_cndmask_b32_e64 v4, 0, 1, vcc
	v_add_u32_e32 v7, 0xfffffc10, v7
	v_or_b32_e32 v4, v10, v4
	v_lshl_or_b32 v9, v7, 12, v1
	v_cmp_gt_i32_e32 vcc, 1, v7
	v_cndmask_b32_e32 v4, v9, v4, vcc
	v_and_b32_e32 v9, 7, v4
	v_cmp_lt_i32_e32 vcc, 5, v9
	v_cmp_eq_u32_e64 s[0:1], 3, v9
	v_lshrrev_b32_e32 v4, 2, v4
	s_or_b64 vcc, s[0:1], vcc
	v_addc_co_u32_e32 v4, vcc, 0, v4, vcc
	v_cmp_gt_i32_e32 vcc, 31, v7
	v_cndmask_b32_e32 v4, v6, v4, vcc
	v_cmp_ne_u32_e32 vcc, 0, v1
	v_cndmask_b32_e64 v1, 0, 1, vcc
	v_lshl_or_b32 v1, v1, 9, v6
	v_cmp_eq_u32_e32 vcc, s16, v7
	v_cndmask_b32_e32 v1, v4, v1, vcc
	v_lshrrev_b32_e32 v4, 16, v8
	v_and_or_b32 v1, v4, s10, v1
	v_and_b32_e32 v0, 0xffff, v0
	v_lshl_or_b32 v4, v1, 16, v0
	v_mov_b32_e32 v1, s2
	v_add_co_u32_e32 v0, vcc, s3, v2
	v_addc_co_u32_e32 v1, vcc, v3, v1, vcc
	global_store_dword v[0:1], v4, off
	global_load_dword v4, v23, s[6:7] offset:528
	v_lshrrev_b32_e32 v7, 16, v5
	s_waitcnt vmcnt(0)
	v_mul_f16_sdwa v2, v7, v4 dst_sel:DWORD dst_unused:UNUSED_PAD src0_sel:DWORD src1_sel:WORD_1
	v_fma_f16 v2, v5, v4, v2
	v_cvt_f32_f16_e32 v2, v2
	v_mul_f16_sdwa v5, v5, v4 dst_sel:DWORD dst_unused:UNUSED_PAD src0_sel:DWORD src1_sel:WORD_1
	v_fma_f16 v4, v4, v7, -v5
	v_cvt_f32_f16_e32 v4, v4
	v_cvt_f64_f32_e32 v[2:3], v2
	v_cvt_f64_f32_e32 v[4:5], v4
	v_mul_f64 v[2:3], v[2:3], s[14:15]
	v_mul_f64 v[4:5], v[4:5], s[14:15]
	v_and_or_b32 v2, v3, s18, v2
	v_cmp_ne_u32_e32 vcc, 0, v2
	v_cndmask_b32_e64 v2, 0, 1, vcc
	v_lshrrev_b32_e32 v8, 8, v3
	v_bfe_u32 v9, v3, 20, 11
	v_and_or_b32 v2, v8, s17, v2
	v_sub_u32_e32 v10, 0x3f1, v9
	v_or_b32_e32 v8, 0x1000, v2
	v_med3_i32 v10, v10, 0, 13
	v_lshrrev_b32_e32 v11, v10, v8
	v_lshlrev_b32_e32 v10, v10, v11
	v_cmp_ne_u32_e32 vcc, v10, v8
	v_cndmask_b32_e64 v8, 0, 1, vcc
	v_add_u32_e32 v9, 0xfffffc10, v9
	v_or_b32_e32 v8, v11, v8
	v_lshl_or_b32 v10, v9, 12, v2
	v_cmp_gt_i32_e32 vcc, 1, v9
	v_cndmask_b32_e32 v8, v10, v8, vcc
	v_and_b32_e32 v10, 7, v8
	v_cmp_lt_i32_e32 vcc, 5, v10
	v_cmp_eq_u32_e64 s[0:1], 3, v10
	v_lshrrev_b32_e32 v7, 2, v8
	s_or_b64 vcc, s[0:1], vcc
	v_addc_co_u32_e32 v7, vcc, 0, v7, vcc
	v_cmp_gt_i32_e32 vcc, 31, v9
	v_cndmask_b32_e32 v7, v6, v7, vcc
	v_cmp_ne_u32_e32 vcc, 0, v2
	v_cndmask_b32_e64 v2, 0, 1, vcc
	v_lshl_or_b32 v2, v2, 9, v6
	v_cmp_eq_u32_e32 vcc, s16, v9
	v_cndmask_b32_e32 v2, v7, v2, vcc
	v_lshrrev_b32_e32 v3, 16, v3
	v_and_or_b32 v2, v3, s10, v2
	v_and_or_b32 v3, v5, s18, v4
	v_cmp_ne_u32_e32 vcc, 0, v3
	v_cndmask_b32_e64 v3, 0, 1, vcc
	v_lshrrev_b32_e32 v4, 8, v5
	v_bfe_u32 v7, v5, 20, 11
	v_and_or_b32 v3, v4, s17, v3
	v_sub_u32_e32 v8, 0x3f1, v7
	v_or_b32_e32 v4, 0x1000, v3
	v_med3_i32 v8, v8, 0, 13
	v_lshrrev_b32_e32 v9, v8, v4
	v_lshlrev_b32_e32 v8, v8, v9
	v_cmp_ne_u32_e32 vcc, v8, v4
	v_cndmask_b32_e64 v4, 0, 1, vcc
	v_add_u32_e32 v7, 0xfffffc10, v7
	v_or_b32_e32 v4, v9, v4
	v_lshl_or_b32 v8, v7, 12, v3
	v_cmp_gt_i32_e32 vcc, 1, v7
	v_cndmask_b32_e32 v4, v8, v4, vcc
	v_and_b32_e32 v8, 7, v4
	v_cmp_lt_i32_e32 vcc, 5, v8
	v_cmp_eq_u32_e64 s[0:1], 3, v8
	v_lshrrev_b32_e32 v4, 2, v4
	s_or_b64 vcc, s[0:1], vcc
	v_addc_co_u32_e32 v4, vcc, 0, v4, vcc
	v_cmp_gt_i32_e32 vcc, 31, v7
	v_cndmask_b32_e32 v4, v6, v4, vcc
	v_cmp_ne_u32_e32 vcc, 0, v3
	v_cndmask_b32_e64 v3, 0, 1, vcc
	v_lshl_or_b32 v3, v3, 9, v6
	v_cmp_eq_u32_e32 vcc, s16, v7
	v_cndmask_b32_e32 v3, v4, v3, vcc
	v_lshrrev_b32_e32 v4, 16, v5
	v_and_or_b32 v3, v4, s10, v3
	v_and_b32_e32 v2, 0xffff, v2
	v_lshl_or_b32 v2, v3, 16, v2
	v_mov_b32_e32 v3, s2
	v_add_co_u32_e32 v0, vcc, s3, v0
	v_addc_co_u32_e32 v1, vcc, v1, v3, vcc
	global_store_dword v[0:1], v2, off
.LBB0_15:
	s_endpgm
	.section	.rodata,"a",@progbits
	.p2align	6, 0x0
	.amdhsa_kernel bluestein_single_back_len143_dim1_half_op_CI_CI
		.amdhsa_group_segment_fixed_size 8008
		.amdhsa_private_segment_fixed_size 0
		.amdhsa_kernarg_size 104
		.amdhsa_user_sgpr_count 6
		.amdhsa_user_sgpr_private_segment_buffer 1
		.amdhsa_user_sgpr_dispatch_ptr 0
		.amdhsa_user_sgpr_queue_ptr 0
		.amdhsa_user_sgpr_kernarg_segment_ptr 1
		.amdhsa_user_sgpr_dispatch_id 0
		.amdhsa_user_sgpr_flat_scratch_init 0
		.amdhsa_user_sgpr_private_segment_size 0
		.amdhsa_uses_dynamic_stack 0
		.amdhsa_system_sgpr_private_segment_wavefront_offset 0
		.amdhsa_system_sgpr_workgroup_id_x 1
		.amdhsa_system_sgpr_workgroup_id_y 0
		.amdhsa_system_sgpr_workgroup_id_z 0
		.amdhsa_system_sgpr_workgroup_info 0
		.amdhsa_system_vgpr_workitem_id 0
		.amdhsa_next_free_vgpr 139
		.amdhsa_next_free_sgpr 28
		.amdhsa_reserve_vcc 1
		.amdhsa_reserve_flat_scratch 0
		.amdhsa_float_round_mode_32 0
		.amdhsa_float_round_mode_16_64 0
		.amdhsa_float_denorm_mode_32 3
		.amdhsa_float_denorm_mode_16_64 3
		.amdhsa_dx10_clamp 1
		.amdhsa_ieee_mode 1
		.amdhsa_fp16_overflow 0
		.amdhsa_exception_fp_ieee_invalid_op 0
		.amdhsa_exception_fp_denorm_src 0
		.amdhsa_exception_fp_ieee_div_zero 0
		.amdhsa_exception_fp_ieee_overflow 0
		.amdhsa_exception_fp_ieee_underflow 0
		.amdhsa_exception_fp_ieee_inexact 0
		.amdhsa_exception_int_div_zero 0
	.end_amdhsa_kernel
	.text
.Lfunc_end0:
	.size	bluestein_single_back_len143_dim1_half_op_CI_CI, .Lfunc_end0-bluestein_single_back_len143_dim1_half_op_CI_CI
                                        ; -- End function
	.section	.AMDGPU.csdata,"",@progbits
; Kernel info:
; codeLenInByte = 19928
; NumSgprs: 32
; NumVgprs: 139
; ScratchSize: 0
; MemoryBound: 0
; FloatMode: 240
; IeeeMode: 1
; LDSByteSize: 8008 bytes/workgroup (compile time only)
; SGPRBlocks: 3
; VGPRBlocks: 34
; NumSGPRsForWavesPerEU: 32
; NumVGPRsForWavesPerEU: 139
; Occupancy: 1
; WaveLimiterHint : 1
; COMPUTE_PGM_RSRC2:SCRATCH_EN: 0
; COMPUTE_PGM_RSRC2:USER_SGPR: 6
; COMPUTE_PGM_RSRC2:TRAP_HANDLER: 0
; COMPUTE_PGM_RSRC2:TGID_X_EN: 1
; COMPUTE_PGM_RSRC2:TGID_Y_EN: 0
; COMPUTE_PGM_RSRC2:TGID_Z_EN: 0
; COMPUTE_PGM_RSRC2:TIDIG_COMP_CNT: 0
	.type	__hip_cuid_90b26638aeb70d13,@object ; @__hip_cuid_90b26638aeb70d13
	.section	.bss,"aw",@nobits
	.globl	__hip_cuid_90b26638aeb70d13
__hip_cuid_90b26638aeb70d13:
	.byte	0                               ; 0x0
	.size	__hip_cuid_90b26638aeb70d13, 1

	.ident	"AMD clang version 19.0.0git (https://github.com/RadeonOpenCompute/llvm-project roc-6.4.0 25133 c7fe45cf4b819c5991fe208aaa96edf142730f1d)"
	.section	".note.GNU-stack","",@progbits
	.addrsig
	.addrsig_sym __hip_cuid_90b26638aeb70d13
	.amdgpu_metadata
---
amdhsa.kernels:
  - .args:
      - .actual_access:  read_only
        .address_space:  global
        .offset:         0
        .size:           8
        .value_kind:     global_buffer
      - .actual_access:  read_only
        .address_space:  global
        .offset:         8
        .size:           8
        .value_kind:     global_buffer
      - .actual_access:  read_only
        .address_space:  global
        .offset:         16
        .size:           8
        .value_kind:     global_buffer
      - .actual_access:  read_only
        .address_space:  global
        .offset:         24
        .size:           8
        .value_kind:     global_buffer
      - .actual_access:  read_only
        .address_space:  global
        .offset:         32
        .size:           8
        .value_kind:     global_buffer
      - .offset:         40
        .size:           8
        .value_kind:     by_value
      - .address_space:  global
        .offset:         48
        .size:           8
        .value_kind:     global_buffer
      - .address_space:  global
        .offset:         56
        .size:           8
        .value_kind:     global_buffer
      - .address_space:  global
        .offset:         64
        .size:           8
        .value_kind:     global_buffer
      - .address_space:  global
        .offset:         72
        .size:           8
        .value_kind:     global_buffer
      - .offset:         80
        .size:           4
        .value_kind:     by_value
      - .address_space:  global
        .offset:         88
        .size:           8
        .value_kind:     global_buffer
      - .address_space:  global
        .offset:         96
        .size:           8
        .value_kind:     global_buffer
    .group_segment_fixed_size: 8008
    .kernarg_segment_align: 8
    .kernarg_segment_size: 104
    .language:       OpenCL C
    .language_version:
      - 2
      - 0
    .max_flat_workgroup_size: 182
    .name:           bluestein_single_back_len143_dim1_half_op_CI_CI
    .private_segment_fixed_size: 0
    .sgpr_count:     32
    .sgpr_spill_count: 0
    .symbol:         bluestein_single_back_len143_dim1_half_op_CI_CI.kd
    .uniform_work_group_size: 1
    .uses_dynamic_stack: false
    .vgpr_count:     139
    .vgpr_spill_count: 0
    .wavefront_size: 64
amdhsa.target:   amdgcn-amd-amdhsa--gfx906
amdhsa.version:
  - 1
  - 2
...

	.end_amdgpu_metadata
